;; amdgpu-corpus repo=ROCm/rocFFT kind=compiled arch=gfx950 opt=O3
	.text
	.amdgcn_target "amdgcn-amd-amdhsa--gfx950"
	.amdhsa_code_object_version 6
	.protected	bluestein_single_back_len3375_dim1_sp_op_CI_CI ; -- Begin function bluestein_single_back_len3375_dim1_sp_op_CI_CI
	.globl	bluestein_single_back_len3375_dim1_sp_op_CI_CI
	.p2align	8
	.type	bluestein_single_back_len3375_dim1_sp_op_CI_CI,@function
bluestein_single_back_len3375_dim1_sp_op_CI_CI: ; @bluestein_single_back_len3375_dim1_sp_op_CI_CI
; %bb.0:
	s_load_dwordx4 s[16:19], s[0:1], 0x28
	v_mul_u32_u24_e32 v1, 0x124, v0
	v_add_u32_sdwa v108, s2, v1 dst_sel:DWORD dst_unused:UNUSED_PAD src0_sel:DWORD src1_sel:WORD_1
	v_mov_b32_e32 v109, 0
	s_waitcnt lgkmcnt(0)
	v_cmp_gt_u64_e32 vcc, s[16:17], v[108:109]
	s_and_saveexec_b64 s[2:3], vcc
	s_cbranch_execz .LBB0_2
; %bb.1:
	s_load_dwordx4 s[12:15], s[0:1], 0x18
	s_load_dwordx4 s[8:11], s[0:1], 0x0
	v_mov_b32_e32 v2, s18
	v_mov_b32_e32 v3, s19
	;; [unrolled: 1-line block ×3, first 2 shown]
	s_waitcnt lgkmcnt(0)
	s_load_dwordx4 s[4:7], s[14:15], 0x0
	s_waitcnt lgkmcnt(0)
	v_mad_u64_u32 v[110:111], s[2:3], s6, v108, 0
	s_load_dwordx4 s[12:15], s[12:13], 0x0
	v_mov_b32_e32 v6, v111
	v_mad_u64_u32 v[126:127], s[2:3], s7, v108, v[6:7]
	v_mov_b32_e32 v127, 0x1518
	s_waitcnt lgkmcnt(0)
	v_mad_u64_u32 v[4:5], s[2:3], s14, v108, 0
	v_mov_b32_e32 v6, v5
	v_mad_u64_u32 v[6:7], s[2:3], s15, v108, v[6:7]
	s_movk_i32 s2, 0xe1
	s_nop 0
	v_mul_lo_u16_sdwa v1, v1, s2 dst_sel:DWORD dst_unused:UNUSED_PAD src0_sel:WORD_1 src1_sel:DWORD
	v_sub_u16_e32 v116, v0, v1
	v_mad_u64_u32 v[0:1], s[2:3], s12, v116, 0
	v_mov_b32_e32 v5, v6
	v_mov_b32_e32 v6, v1
	v_mad_u64_u32 v[6:7], s[2:3], s13, v116, v[6:7]
	v_mov_b32_e32 v1, v6
	v_lshl_add_u64 v[2:3], v[4:5], 3, v[2:3]
	v_lshl_add_u64 v[2:3], v[0:1], 3, v[2:3]
	global_load_dwordx2 v[0:1], v[2:3], off
	v_lshlrev_b32_e32 v108, 3, v116
	v_mad_u64_u32 v[2:3], s[2:3], s12, v127, v[2:3]
	v_lshl_add_u64 v[146:147], s[8:9], 0, v[108:109]
	s_mul_i32 s2, s13, 0x1518
	s_movk_i32 s7, 0x1000
	v_add_u32_e32 v3, s2, v3
	v_add_co_u32_e32 v4, vcc, s7, v146
	v_mad_u64_u32 v[6:7], s[14:15], s12, v127, v[2:3]
	s_nop 0
	v_addc_co_u32_e32 v5, vcc, 0, v147, vcc
	s_movk_i32 s3, 0x2000
	v_add_u32_e32 v7, s2, v7
	v_add_co_u32_e32 v8, vcc, s3, v146
	v_mad_u64_u32 v[10:11], s[14:15], s12, v127, v[6:7]
	s_nop 0
	v_addc_co_u32_e32 v9, vcc, 0, v147, vcc
	;; [unrolled: 6-line block ×3, first 2 shown]
	s_movk_i32 s6, 0x5000
	global_load_dwordx2 v[128:129], v[4:5], off offset:1304
	global_load_dwordx2 v[120:121], v[8:9], off offset:2608
	v_add_u32_e32 v15, s2, v15
	global_load_dwordx2 v[16:17], v[2:3], off
	global_load_dwordx2 v[18:19], v[6:7], off
	;; [unrolled: 1-line block ×4, first 2 shown]
	v_add_co_u32_e32 v2, vcc, s6, v146
	s_mul_i32 s6, s13, 0xffffb2a8
	v_mad_u64_u32 v[6:7], s[14:15], s12, v149, v[14:15]
	s_sub_i32 s6, s6, s12
	v_addc_co_u32_e32 v3, vcc, 0, v147, vcc
	global_load_dwordx2 v[132:133], v[12:13], off offset:3912
	global_load_dwordx2 v[122:123], v[2:3], off offset:1120
	global_load_dwordx2 v[144:145], v108, s[8:9]
	v_add_u32_e32 v7, s6, v7
	global_load_dwordx2 v[10:11], v[6:7], off
	global_load_dwordx2 v[124:125], v108, s[8:9] offset:1800
	v_mad_u64_u32 v[6:7], s[14:15], s12, v127, v[6:7]
	v_add_u32_e32 v7, s2, v7
	global_load_dwordx2 v[14:15], v[6:7], off
	global_load_dwordx2 v[118:119], v[4:5], off offset:3104
	v_mad_u64_u32 v[4:5], s[14:15], s12, v127, v[6:7]
	v_add_u32_e32 v5, s2, v5
	global_load_dwordx2 v[6:7], v[4:5], off
	global_load_dwordx2 v[114:115], v[12:13], off offset:312
	v_mad_u64_u32 v[4:5], s[14:15], s12, v127, v[4:5]
	s_movk_i32 s13, 0x4000
	v_add_u32_e32 v5, s2, v5
	v_add_co_u32_e32 v26, vcc, s13, v146
	global_load_dwordx2 v[24:25], v[4:5], off
	s_nop 0
	v_addc_co_u32_e32 v27, vcc, 0, v147, vcc
	v_mad_u64_u32 v[4:5], s[14:15], s12, v127, v[4:5]
	s_movk_i32 s13, 0x6000
	v_add_u32_e32 v5, s2, v5
	v_add_co_u32_e32 v164, vcc, s13, v146
	global_load_dwordx2 v[28:29], v[4:5], off
	s_nop 0
	v_addc_co_u32_e32 v165, vcc, 0, v147, vcc
	global_load_dwordx2 v[142:143], v[26:27], off offset:1616
	global_load_dwordx2 v[130:131], v[26:27], off offset:3416
	global_load_dwordx2 v[112:113], v[164:165], off offset:624
	global_load_dwordx2 v[140:141], v[2:3], off offset:2920
	v_mad_u64_u32 v[2:3], s[14:15], s12, v149, v[4:5]
	v_add_u32_e32 v3, s6, v3
	global_load_dwordx2 v[4:5], v[2:3], off
	global_load_dwordx2 v[138:139], v108, s[8:9] offset:3600
	v_mad_u64_u32 v[2:3], s[8:9], s12, v127, v[2:3]
	v_add_u32_e32 v3, s2, v3
	global_load_dwordx2 v[26:27], v[2:3], off
	global_load_dwordx2 v[136:137], v[8:9], off offset:808
	v_mad_u64_u32 v[2:3], s[8:9], s12, v127, v[2:3]
	v_add_u32_e32 v3, s2, v3
	global_load_dwordx2 v[8:9], v[2:3], off
	global_load_dwordx2 v[134:135], v[12:13], off offset:2112
	v_mad_u64_u32 v[2:3], s[8:9], s12, v127, v[2:3]
	v_add_u32_e32 v3, s2, v3
	global_load_dwordx2 v[12:13], v[2:3], off
	v_mad_u64_u32 v[2:3], s[8:9], s12, v127, v[2:3]
	v_add_u32_e32 v3, s2, v3
	global_load_dwordx2 v[2:3], v[2:3], off
	v_add_u32_e32 v153, 0x1c00, v108
	v_add_u32_e32 v169, 0x3100, v108
	;; [unrolled: 1-line block ×8, first 2 shown]
	s_mov_b32 s2, 0x3f737871
	s_mov_b32 s8, 0x3f167918
	;; [unrolled: 1-line block ×3, first 2 shown]
	s_mov_b64 s[12:13], 0xe1
	s_movk_i32 s14, 0x625
	s_load_dwordx2 s[0:1], s[0:1], 0x38
	s_waitcnt vmcnt(20)
	v_mul_f32_e32 v30, v0, v145
	v_fma_f32 v31, v1, v144, -v30
	v_mul_f32_e32 v30, v1, v145
	v_fmac_f32_e32 v30, v0, v144
	v_mul_f32_e32 v0, v16, v129
	v_fma_f32 v1, v17, v128, -v0
	v_mul_f32_e32 v0, v17, v129
	v_fmac_f32_e32 v0, v16, v128
	ds_write_b64 v108, v[0:1] offset:5400
	v_mul_f32_e32 v0, v19, v121
	v_mul_f32_e32 v1, v18, v121
	v_fmac_f32_e32 v0, v18, v120
	v_fma_f32 v1, v19, v120, -v1
	ds_write_b64 v108, v[0:1] offset:10800
	v_mul_f32_e32 v0, v21, v133
	v_mul_f32_e32 v1, v20, v133
	v_fmac_f32_e32 v0, v20, v132
	v_fma_f32 v1, v21, v132, -v1
	;; [unrolled: 5-line block ×3, first 2 shown]
	ds_write_b64 v108, v[0:1] offset:21600
	s_waitcnt vmcnt(18)
	v_mul_f32_e32 v0, v11, v125
	v_mul_f32_e32 v1, v10, v125
	v_fmac_f32_e32 v0, v10, v124
	v_fma_f32 v1, v11, v124, -v1
	ds_write2_b64 v108, v[30:31], v[0:1] offset1:225
	s_waitcnt vmcnt(16)
	v_mul_f32_e32 v0, v15, v119
	v_mul_f32_e32 v1, v14, v119
	v_fmac_f32_e32 v0, v14, v118
	v_fma_f32 v1, v15, v118, -v1
	s_waitcnt vmcnt(6)
	v_mul_f32_e32 v16, v5, v139
	v_fmac_f32_e32 v16, v4, v138
	v_mul_f32_e32 v4, v4, v139
	v_fma_f32 v17, v5, v138, -v4
	s_waitcnt vmcnt(4)
	v_mul_f32_e32 v4, v27, v137
	v_mul_f32_e32 v5, v26, v137
	;; [unrolled: 1-line block ×3, first 2 shown]
	v_fmac_f32_e32 v4, v26, v136
	v_fma_f32 v5, v27, v136, -v5
	v_fmac_f32_e32 v10, v6, v114
	v_mul_f32_e32 v6, v6, v115
	ds_write2_b64 v153, v[0:1], v[4:5] offset0:4 offset1:229
	s_waitcnt vmcnt(2)
	v_mul_f32_e32 v0, v9, v135
	v_mul_f32_e32 v1, v8, v135
	v_fma_f32 v11, v7, v114, -v6
	v_fmac_f32_e32 v0, v8, v134
	v_fma_f32 v1, v9, v134, -v1
	v_mul_f32_e32 v6, v25, v143
	v_mul_f32_e32 v7, v24, v143
	ds_write2_b64 v169, v[10:11], v[0:1] offset0:7 offset1:232
	s_waitcnt vmcnt(1)
	v_mul_f32_e32 v0, v13, v131
	v_mul_f32_e32 v1, v12, v131
	v_fmac_f32_e32 v6, v24, v142
	v_fma_f32 v7, v25, v142, -v7
	v_fmac_f32_e32 v0, v12, v130
	v_fma_f32 v1, v13, v130, -v1
	v_mul_f32_e32 v14, v29, v141
	v_mul_f32_e32 v15, v28, v141
	ds_write2_b64 v151, v[6:7], v[0:1] offset0:10 offset1:235
	s_waitcnt vmcnt(0)
	v_mul_f32_e32 v0, v3, v113
	v_mul_f32_e32 v1, v2, v113
	v_fmac_f32_e32 v14, v28, v140
	v_fma_f32 v15, v29, v140, -v15
	v_fmac_f32_e32 v0, v2, v112
	v_fma_f32 v1, v3, v112, -v1
	ds_write_b64 v108, v[16:17] offset:3600
	ds_write2_b64 v171, v[14:15], v[0:1] offset0:13 offset1:238
	s_waitcnt lgkmcnt(0)
	s_barrier
	ds_read2_b64 v[0:3], v157 offset0:6 offset1:231
	ds_read2_b64 v[4:7], v155 offset0:12 offset1:237
	;; [unrolled: 1-line block ×4, first 2 shown]
	ds_read2_b64 v[16:19], v108 offset1:225
	s_waitcnt lgkmcnt(2)
	v_pk_add_f32 v[20:21], v[10:11], v[0:1] neg_lo:[0,1] neg_hi:[0,1]
	s_waitcnt lgkmcnt(1)
	v_pk_add_f32 v[22:23], v[4:5], v[14:15] neg_lo:[0,1] neg_hi:[0,1]
	v_pk_add_f32 v[30:31], v[10:11], v[4:5] neg_lo:[0,1] neg_hi:[0,1]
	v_pk_add_f32 v[28:29], v[20:21], v[22:23]
	v_pk_add_f32 v[20:21], v[0:1], v[14:15]
	v_pk_mul_f32 v[22:23], v[30:31], s[2:3] op_sel_hi:[1,0]
	s_waitcnt lgkmcnt(0)
	v_pk_fma_f32 v[20:21], v[20:21], 0.5, v[16:17] op_sel_hi:[1,0,1] neg_lo:[1,0,0] neg_hi:[1,0,0]
	v_pk_add_f32 v[32:33], v[0:1], v[14:15] neg_lo:[0,1] neg_hi:[0,1]
	v_pk_add_f32 v[24:25], v[20:21], v[22:23] op_sel:[0,1] op_sel_hi:[1,0]
	v_pk_add_f32 v[20:21], v[20:21], v[22:23] op_sel:[0,1] op_sel_hi:[1,0] neg_lo:[0,1] neg_hi:[0,1]
	v_pk_mul_f32 v[22:23], v[32:33], s[8:9] op_sel_hi:[1,0]
	s_nop 0
	v_pk_add_f32 v[34:35], v[20:21], v[22:23] op_sel:[0,1] op_sel_hi:[1,0] neg_lo:[0,1] neg_hi:[0,1]
	v_mul_lo_u16_e32 v20, 5, v116
	v_lshlrev_b32_e32 v111, 3, v20
	v_pk_add_f32 v[20:21], v[16:17], v[10:11]
	v_pk_add_f32 v[36:37], v[24:25], v[22:23] op_sel:[0,1] op_sel_hi:[1,0]
	v_pk_add_f32 v[20:21], v[20:21], v[0:1]
	v_pk_add_f32 v[0:1], v[0:1], v[10:11] neg_lo:[0,1] neg_hi:[0,1]
	v_pk_add_f32 v[20:21], v[20:21], v[14:15]
	v_pk_add_f32 v[14:15], v[14:15], v[4:5] neg_lo:[0,1] neg_hi:[0,1]
	v_pk_add_f32 v[38:39], v[20:21], v[4:5]
	ds_read_b64 v[40:41], v108 offset:25200
	ds_read2_b64 v[20:23], v153 offset0:4 offset1:229
	ds_read2_b64 v[24:27], v151 offset0:10 offset1:235
	v_pk_add_f32 v[4:5], v[10:11], v[4:5]
	v_pk_mul_f32 v[10:11], v[32:33], s[2:3] op_sel_hi:[1,0]
	v_pk_fma_f32 v[4:5], v[4:5], 0.5, v[16:17] op_sel_hi:[1,0,1] neg_lo:[1,0,0] neg_hi:[1,0,0]
	v_pk_add_f32 v[0:1], v[0:1], v[14:15]
	v_pk_add_f32 v[14:15], v[4:5], v[10:11] op_sel:[0,1] op_sel_hi:[1,0] neg_lo:[0,1] neg_hi:[0,1]
	v_pk_add_f32 v[4:5], v[4:5], v[10:11] op_sel:[0,1] op_sel_hi:[1,0]
	v_pk_mul_f32 v[10:11], v[30:31], s[8:9] op_sel_hi:[1,0]
	s_waitcnt lgkmcnt(0)
	v_pk_add_f32 v[16:17], v[6:7], v[24:25] neg_lo:[0,1] neg_hi:[0,1]
	v_pk_add_f32 v[4:5], v[4:5], v[10:11] op_sel:[0,1] op_sel_hi:[1,0] neg_lo:[0,1] neg_hi:[0,1]
	v_pk_add_f32 v[10:11], v[14:15], v[10:11] op_sel:[0,1] op_sel_hi:[1,0]
	v_mov_b32_e32 v15, v5
	v_mov_b32_e32 v14, v10
	;; [unrolled: 1-line block ×3, first 2 shown]
	v_pk_fma_f32 v[10:11], v[0:1], s[6:7], v[14:15] op_sel_hi:[1,0,1]
	v_pk_fma_f32 v[0:1], v[0:1], s[6:7], v[4:5] op_sel_hi:[1,0,1]
	v_pk_add_f32 v[14:15], v[20:21], v[2:3] neg_lo:[0,1] neg_hi:[0,1]
	s_barrier
	ds_write2_b64 v111, v[10:11], v[0:1] offset0:2 offset1:3
	v_pk_add_f32 v[0:1], v[2:3], v[24:25]
	v_pk_add_f32 v[4:5], v[20:21], v[6:7]
	;; [unrolled: 1-line block ×3, first 2 shown]
	v_pk_add_f32 v[16:17], v[20:21], v[6:7] neg_lo:[0,1] neg_hi:[0,1]
	v_pk_fma_f32 v[0:1], v[0:1], 0.5, v[18:19] op_sel_hi:[1,0,1] neg_lo:[1,0,0] neg_hi:[1,0,0]
	v_pk_fma_f32 v[4:5], v[4:5], 0.5, v[18:19] op_sel_hi:[1,0,1] neg_lo:[1,0,0] neg_hi:[1,0,0]
	v_pk_add_f32 v[10:11], v[18:19], v[20:21]
	v_pk_mul_f32 v[18:19], v[16:17], s[2:3] op_sel_hi:[1,0]
	v_mov_b32_e32 v42, v36
	v_pk_add_f32 v[30:31], v[0:1], v[18:19] op_sel:[0,1] op_sel_hi:[1,0]
	v_pk_add_f32 v[0:1], v[0:1], v[18:19] op_sel:[0,1] op_sel_hi:[1,0] neg_lo:[0,1] neg_hi:[0,1]
	v_pk_add_f32 v[18:19], v[2:3], v[24:25] neg_lo:[0,1] neg_hi:[0,1]
	v_mov_b32_e32 v43, v35
	v_pk_mul_f32 v[32:33], v[18:19], s[8:9] op_sel_hi:[1,0]
	s_mov_b32 s9, 0
	v_mov_b32_e32 v35, v37
	v_mov_b32_e32 v117, s9
	v_pk_fma_f32 v[42:43], v[28:29], s[6:7], v[42:43] op_sel_hi:[1,0,1]
	v_pk_fma_f32 v[28:29], v[28:29], s[6:7], v[34:35] op_sel_hi:[1,0,1]
	v_lshl_add_u64 v[80:81], v[116:117], 0, s[12:13]
	v_pk_add_f32 v[10:11], v[10:11], v[2:3]
	v_pk_add_f32 v[0:1], v[0:1], v[32:33] op_sel:[0,1] op_sel_hi:[1,0] neg_lo:[0,1] neg_hi:[0,1]
	v_pk_add_f32 v[30:31], v[30:31], v[32:33] op_sel:[0,1] op_sel_hi:[1,0]
	ds_write_b64 v111, v[28:29] offset:32
	v_mul_u32_u24_e32 v28, 5, v80
	v_pk_add_f32 v[10:11], v[10:11], v[24:25]
	v_lshlrev_b32_e32 v167, 3, v28
	v_pk_add_f32 v[10:11], v[10:11], v[6:7]
	v_mov_b32_e32 v28, v30
	v_mov_b32_e32 v29, v1
	v_pk_add_f32 v[2:3], v[2:3], v[20:21] neg_lo:[0,1] neg_hi:[0,1]
	v_pk_add_f32 v[6:7], v[24:25], v[6:7] neg_lo:[0,1] neg_hi:[0,1]
	v_pk_fma_f32 v[28:29], v[14:15], s[6:7], v[28:29] op_sel_hi:[1,0,1]
	v_pk_add_f32 v[2:3], v[2:3], v[6:7]
	v_pk_mul_f32 v[6:7], v[18:19], s[2:3] op_sel_hi:[1,0]
	ds_write2_b64 v111, v[38:39], v[42:43] offset1:1
	ds_write2_b64 v167, v[10:11], v[28:29] offset1:1
	v_pk_add_f32 v[10:11], v[4:5], v[6:7] op_sel:[0,1] op_sel_hi:[1,0] neg_lo:[0,1] neg_hi:[0,1]
	v_pk_add_f32 v[4:5], v[4:5], v[6:7] op_sel:[0,1] op_sel_hi:[1,0]
	v_pk_mul_f32 v[6:7], v[16:17], s[8:9] op_sel_hi:[1,0]
	v_mov_b32_e32 v1, v31
	v_pk_add_f32 v[4:5], v[4:5], v[6:7] op_sel:[0,1] op_sel_hi:[1,0] neg_lo:[0,1] neg_hi:[0,1]
	v_pk_add_f32 v[6:7], v[10:11], v[6:7] op_sel:[0,1] op_sel_hi:[1,0]
	v_mov_b32_e32 v11, v5
	v_mov_b32_e32 v10, v6
	;; [unrolled: 1-line block ×3, first 2 shown]
	v_pk_fma_f32 v[6:7], v[2:3], s[6:7], v[10:11] op_sel_hi:[1,0,1]
	v_pk_fma_f32 v[2:3], v[2:3], s[6:7], v[4:5] op_sel_hi:[1,0,1]
	;; [unrolled: 1-line block ×3, first 2 shown]
	ds_write2_b64 v167, v[6:7], v[2:3] offset0:2 offset1:3
	ds_write_b64 v167, v[0:1] offset:32
	v_pk_add_f32 v[0:1], v[22:23], v[12:13] neg_lo:[0,1] neg_hi:[0,1]
	v_pk_add_f32 v[2:3], v[40:41], v[26:27] neg_lo:[0,1] neg_hi:[0,1]
	;; [unrolled: 1-line block ×3, first 2 shown]
	v_pk_add_f32 v[0:1], v[0:1], v[2:3]
	v_pk_add_f32 v[2:3], v[12:13], v[26:27]
	v_pk_mul_f32 v[6:7], v[4:5], s[2:3] op_sel_hi:[1,0]
	v_pk_fma_f32 v[2:3], v[2:3], 0.5, v[8:9] op_sel_hi:[1,0,1] neg_lo:[1,0,0] neg_hi:[1,0,0]
	s_mov_b64 s[12:13], 0x1c2
	v_pk_add_f32 v[10:11], v[2:3], v[6:7] op_sel:[0,1] op_sel_hi:[1,0]
	v_pk_add_f32 v[2:3], v[2:3], v[6:7] op_sel:[0,1] op_sel_hi:[1,0] neg_lo:[0,1] neg_hi:[0,1]
	v_pk_add_f32 v[6:7], v[12:13], v[26:27] neg_lo:[0,1] neg_hi:[0,1]
	v_lshl_add_u64 v[96:97], v[116:117], 0, s[12:13]
	v_pk_mul_f32 v[14:15], v[6:7], s[8:9] op_sel_hi:[1,0]
	v_pk_mul_f32 v[4:5], v[4:5], s[8:9] op_sel_hi:[1,0]
	v_pk_add_f32 v[2:3], v[2:3], v[14:15] op_sel:[0,1] op_sel_hi:[1,0] neg_lo:[0,1] neg_hi:[0,1]
	v_pk_add_f32 v[10:11], v[10:11], v[14:15] op_sel:[0,1] op_sel_hi:[1,0]
	v_mul_u32_u24_e32 v14, 5, v96
	v_lshlrev_b32_e32 v163, 3, v14
	v_pk_add_f32 v[14:15], v[8:9], v[22:23]
	v_mov_b32_e32 v16, v10
	v_pk_add_f32 v[14:15], v[14:15], v[12:13]
	v_mov_b32_e32 v17, v3
	v_pk_add_f32 v[14:15], v[14:15], v[26:27]
	v_pk_fma_f32 v[16:17], v[0:1], s[6:7], v[16:17] op_sel_hi:[1,0,1]
	v_pk_add_f32 v[14:15], v[14:15], v[40:41]
	v_mov_b32_e32 v3, v11
	ds_write2_b64 v163, v[14:15], v[16:17] offset1:1
	v_pk_add_f32 v[14:15], v[22:23], v[40:41]
	v_pk_fma_f32 v[0:1], v[0:1], s[6:7], v[2:3] op_sel_hi:[1,0,1]
	s_mov_b32 s9, 0xcccd
	v_pk_add_f32 v[12:13], v[12:13], v[22:23] neg_lo:[0,1] neg_hi:[0,1]
	v_pk_fma_f32 v[8:9], v[14:15], 0.5, v[8:9] op_sel_hi:[1,0,1] neg_lo:[1,0,0] neg_hi:[1,0,0]
	v_pk_add_f32 v[14:15], v[26:27], v[40:41] neg_lo:[0,1] neg_hi:[0,1]
	v_pk_mul_f32 v[6:7], v[6:7], s[2:3] op_sel_hi:[1,0]
	ds_write_b64 v163, v[0:1] offset:32
	v_mul_u32_u24_sdwa v0, v96, s9 dst_sel:DWORD dst_unused:UNUSED_PAD src0_sel:WORD_0 src1_sel:DWORD
	v_pk_add_f32 v[12:13], v[12:13], v[14:15]
	v_pk_add_f32 v[14:15], v[8:9], v[6:7] op_sel:[0,1] op_sel_hi:[1,0] neg_lo:[0,1] neg_hi:[0,1]
	v_pk_add_f32 v[6:7], v[8:9], v[6:7] op_sel:[0,1] op_sel_hi:[1,0]
	v_lshrrev_b32_e32 v84, 18, v0
	v_pk_add_f32 v[6:7], v[6:7], v[4:5] op_sel:[0,1] op_sel_hi:[1,0] neg_lo:[0,1] neg_hi:[0,1]
	v_pk_add_f32 v[4:5], v[14:15], v[4:5] op_sel:[0,1] op_sel_hi:[1,0]
	v_mul_lo_u16_e32 v0, 5, v84
	v_mov_b32_e32 v8, v4
	v_mov_b32_e32 v9, v7
	;; [unrolled: 1-line block ×3, first 2 shown]
	v_sub_u16_e32 v85, v96, v0
	v_pk_fma_f32 v[8:9], v[12:13], s[6:7], v[8:9] op_sel_hi:[1,0,1]
	v_pk_fma_f32 v[4:5], v[12:13], s[6:7], v[6:7] op_sel_hi:[1,0,1]
	v_lshlrev_b16_e32 v0, 2, v85
	ds_write2_b64 v163, v[8:9], v[4:5] offset0:2 offset1:3
	v_lshlrev_b32_e32 v8, 3, v0
	v_mul_u32_u24_sdwa v0, v80, s9 dst_sel:DWORD dst_unused:UNUSED_PAD src0_sel:WORD_0 src1_sel:DWORD
	v_lshrrev_b32_e32 v86, 18, v0
	v_mul_lo_u16_e32 v0, 5, v86
	s_waitcnt lgkmcnt(0)
	s_barrier
	global_load_dwordx4 v[4:7], v8, s[10:11]
	v_sub_u16_e32 v87, v80, v0
	v_lshlrev_b16_e32 v0, 2, v87
	v_lshlrev_b32_e32 v9, 3, v0
	global_load_dwordx4 v[0:3], v9, s[10:11]
	global_load_dwordx4 v[20:23], v8, s[10:11] offset:16
	global_load_dwordx4 v[12:15], v9, s[10:11] offset:16
	s_movk_i32 s9, 0xcd
	v_mul_lo_u16_sdwa v8, v116, s9 dst_sel:DWORD dst_unused:UNUSED_PAD src0_sel:BYTE_0 src1_sel:DWORD
	v_lshrrev_b16_e32 v78, 10, v8
	v_mul_lo_u16_e32 v8, 5, v78
	v_sub_u16_e32 v8, v116, v8
	v_and_b32_e32 v79, 0xff, v8
	v_lshlrev_b32_e32 v16, 5, v79
	global_load_dwordx4 v[8:11], v16, s[10:11]
	global_load_dwordx4 v[28:31], v16, s[10:11] offset:16
	ds_read2_b64 v[16:19], v153 offset0:4 offset1:229
	ds_read2_b64 v[24:27], v151 offset0:10 offset1:235
	s_mov_b64 s[12:13], 0x384
	s_waitcnt vmcnt(5) lgkmcnt(1)
	v_pk_mul_f32 v[32:33], v[18:19], v[4:5] op_sel:[0,1]
	s_nop 0
	v_pk_fma_f32 v[34:35], v[18:19], v[4:5], v[32:33] op_sel:[0,0,1] op_sel_hi:[1,1,0] neg_lo:[0,0,1] neg_hi:[0,0,1]
	v_pk_fma_f32 v[32:33], v[18:19], v[4:5], v[32:33] op_sel:[0,0,1] op_sel_hi:[1,0,0]
	s_waitcnt vmcnt(4)
	v_pk_mul_f32 v[18:19], v[16:17], v[0:1] op_sel:[0,1]
	v_mov_b32_e32 v150, v3
	v_pk_fma_f32 v[36:37], v[16:17], v[0:1], v[18:19] op_sel:[0,0,1] op_sel_hi:[1,1,0] neg_lo:[0,0,1] neg_hi:[0,0,1]
	v_pk_fma_f32 v[38:39], v[16:17], v[0:1], v[18:19] op_sel:[0,0,1] op_sel_hi:[1,0,0]
	s_waitcnt vmcnt(3) lgkmcnt(0)
	v_pk_mul_f32 v[16:17], v[26:27], v[20:21] op_sel:[0,1]
	v_mov_b32_e32 v152, v7
	v_pk_fma_f32 v[40:41], v[26:27], v[20:21], v[16:17] op_sel:[0,0,1] op_sel_hi:[1,1,0] neg_lo:[0,0,1] neg_hi:[0,0,1]
	v_pk_fma_f32 v[42:43], v[26:27], v[20:21], v[16:17] op_sel:[0,0,1] op_sel_hi:[1,0,0]
	ds_read2_b64 v[16:19], v157 offset0:6 offset1:231
	s_waitcnt vmcnt(2)
	v_pk_mul_f32 v[26:27], v[24:25], v[12:13] op_sel:[0,1]
	s_waitcnt vmcnt(1)
	v_mov_b32_e32 v148, v11
	v_pk_fma_f32 v[44:45], v[24:25], v[12:13], v[26:27] op_sel:[0,0,1] op_sel_hi:[1,1,0] neg_lo:[0,0,1] neg_hi:[0,0,1]
	v_pk_fma_f32 v[46:47], v[24:25], v[12:13], v[26:27] op_sel:[0,0,1] op_sel_hi:[1,0,0]
	s_waitcnt lgkmcnt(0)
	v_pk_mul_f32 v[24:25], v[18:19], v[150:151] op_sel_hi:[1,0]
	v_mov_b32_e32 v156, v15
	v_pk_fma_f32 v[48:49], v[18:19], v[2:3], v[24:25] op_sel:[0,0,1] op_sel_hi:[1,1,0] neg_lo:[0,0,1] neg_hi:[0,0,1]
	v_pk_fma_f32 v[50:51], v[18:19], v[2:3], v[24:25] op_sel:[0,0,1] op_sel_hi:[1,0,0]
	ds_read2_b64 v[24:27], v159 offset0:8 offset1:233
	v_pk_mul_f32 v[18:19], v[16:17], v[148:149] op_sel_hi:[1,0]
	s_waitcnt vmcnt(0)
	v_mov_b32_e32 v154, v31
	v_pk_fma_f32 v[52:53], v[16:17], v[10:11], v[18:19] op_sel:[0,0,1] op_sel_hi:[1,1,0] neg_lo:[0,0,1] neg_hi:[0,0,1]
	v_pk_fma_f32 v[54:55], v[16:17], v[10:11], v[18:19] op_sel:[0,0,1] op_sel_hi:[1,0,0]
	s_waitcnt lgkmcnt(0)
	v_pk_mul_f32 v[16:17], v[24:25], v[152:153] op_sel_hi:[1,0]
	v_mov_b32_e32 v53, v55
	v_pk_fma_f32 v[56:57], v[24:25], v[6:7], v[16:17] op_sel:[0,0,1] op_sel_hi:[1,1,0] neg_lo:[0,0,1] neg_hi:[0,0,1]
	v_pk_fma_f32 v[58:59], v[24:25], v[6:7], v[16:17] op_sel:[0,0,1] op_sel_hi:[1,0,0]
	ds_read2_b64 v[16:19], v155 offset0:12 offset1:237
	v_pk_mul_f32 v[24:25], v[26:27], v[28:29] op_sel:[0,1]
	v_mul_u32_u24_e32 v7, 25, v78
	v_pk_fma_f32 v[60:61], v[26:27], v[28:29], v[24:25] op_sel:[0,0,1] op_sel_hi:[1,1,0] neg_lo:[0,0,1] neg_hi:[0,0,1]
	v_pk_fma_f32 v[62:63], v[26:27], v[28:29], v[24:25] op_sel:[0,0,1] op_sel_hi:[1,0,0]
	s_waitcnt lgkmcnt(0)
	v_pk_mul_f32 v[24:25], v[18:19], v[156:157] op_sel_hi:[1,0]
	v_mov_b32_e32 v61, v63
	v_pk_fma_f32 v[64:65], v[18:19], v[14:15], v[24:25] op_sel:[0,0,1] op_sel_hi:[1,1,0] neg_lo:[0,0,1] neg_hi:[0,0,1]
	v_pk_fma_f32 v[66:67], v[18:19], v[14:15], v[24:25] op_sel:[0,0,1] op_sel_hi:[1,0,0]
	ds_read2_b64 v[24:27], v161 offset0:2 offset1:227
	v_pk_mul_f32 v[18:19], v[16:17], v[154:155] op_sel_hi:[1,0]
	v_add_lshl_u32 v7, v7, v79, 3
	v_pk_fma_f32 v[68:69], v[16:17], v[30:31], v[18:19] op_sel:[0,0,1] op_sel_hi:[1,1,0] neg_lo:[0,0,1] neg_hi:[0,0,1]
	v_pk_fma_f32 v[16:17], v[16:17], v[30:31], v[18:19] op_sel:[0,0,1] op_sel_hi:[1,0,0]
	s_waitcnt lgkmcnt(0)
	v_pk_mul_f32 v[18:19], v[26:27], v[8:9] op_sel:[0,1]
	v_mov_b32_e32 v69, v17
	v_pk_fma_f32 v[70:71], v[26:27], v[8:9], v[18:19] op_sel:[0,0,1] op_sel_hi:[1,1,0] neg_lo:[0,0,1] neg_hi:[0,0,1]
	v_pk_fma_f32 v[18:19], v[26:27], v[8:9], v[18:19] op_sel:[0,0,1] op_sel_hi:[1,0,0]
	v_pk_add_f32 v[54:55], v[68:69], v[60:61] neg_lo:[0,1] neg_hi:[0,1]
	v_mov_b32_e32 v71, v19
	ds_read2_b64 v[16:19], v108 offset1:225
	v_pk_add_f32 v[26:27], v[70:71], v[52:53] neg_lo:[0,1] neg_hi:[0,1]
	v_pk_add_f32 v[62:63], v[70:71], v[68:69] neg_lo:[0,1] neg_hi:[0,1]
	v_pk_add_f32 v[26:27], v[26:27], v[54:55]
	v_pk_add_f32 v[54:55], v[52:53], v[60:61]
	v_pk_mul_f32 v[72:73], v[62:63], s[2:3] op_sel_hi:[1,0]
	s_waitcnt lgkmcnt(0)
	v_pk_fma_f32 v[54:55], v[54:55], 0.5, v[16:17] op_sel_hi:[1,0,1] neg_lo:[1,0,0] neg_hi:[1,0,0]
	ds_read_b64 v[78:79], v108 offset:25200
	v_pk_add_f32 v[74:75], v[54:55], v[72:73] op_sel:[0,1] op_sel_hi:[1,0]
	v_pk_add_f32 v[54:55], v[54:55], v[72:73] op_sel:[0,1] op_sel_hi:[1,0] neg_lo:[0,1] neg_hi:[0,1]
	v_pk_add_f32 v[72:73], v[52:53], v[60:61] neg_lo:[0,1] neg_hi:[0,1]
	s_waitcnt lgkmcnt(0)
	v_pk_mul_f32 v[76:77], v[72:73], s[8:9] op_sel_hi:[1,0]
	s_barrier
	v_pk_add_f32 v[54:55], v[54:55], v[76:77] op_sel:[0,1] op_sel_hi:[1,0] neg_lo:[0,1] neg_hi:[0,1]
	v_pk_add_f32 v[74:75], v[74:75], v[76:77] op_sel:[0,1] op_sel_hi:[1,0]
	v_pk_add_f32 v[76:77], v[16:17], v[70:71]
	v_mov_b32_e32 v82, v74
	v_pk_add_f32 v[76:77], v[76:77], v[52:53]
	v_pk_add_f32 v[52:53], v[52:53], v[70:71] neg_lo:[0,1] neg_hi:[0,1]
	v_pk_add_f32 v[76:77], v[76:77], v[60:61]
	v_pk_add_f32 v[70:71], v[70:71], v[68:69]
	v_pk_add_f32 v[60:61], v[60:61], v[68:69] neg_lo:[0,1] neg_hi:[0,1]
	v_pk_fma_f32 v[16:17], v[70:71], 0.5, v[16:17] op_sel_hi:[1,0,1] neg_lo:[1,0,0] neg_hi:[1,0,0]
	v_pk_add_f32 v[52:53], v[52:53], v[60:61]
	v_pk_mul_f32 v[60:61], v[72:73], s[2:3] op_sel_hi:[1,0]
	v_pk_add_f32 v[76:77], v[76:77], v[68:69]
	v_pk_add_f32 v[68:69], v[16:17], v[60:61] op_sel:[0,1] op_sel_hi:[1,0] neg_lo:[0,1] neg_hi:[0,1]
	v_pk_add_f32 v[16:17], v[16:17], v[60:61] op_sel:[0,1] op_sel_hi:[1,0]
	v_pk_mul_f32 v[60:61], v[62:63], s[8:9] op_sel_hi:[1,0]
	v_mov_b32_e32 v83, v55
	v_pk_add_f32 v[16:17], v[16:17], v[60:61] op_sel:[0,1] op_sel_hi:[1,0] neg_lo:[0,1] neg_hi:[0,1]
	v_pk_add_f32 v[60:61], v[68:69], v[60:61] op_sel:[0,1] op_sel_hi:[1,0]
	v_mov_b32_e32 v55, v75
	v_pk_fma_f32 v[82:83], v[26:27], s[6:7], v[82:83] op_sel_hi:[1,0,1]
	v_mov_b32_e32 v62, v60
	v_mov_b32_e32 v63, v17
	;; [unrolled: 1-line block ×3, first 2 shown]
	v_pk_fma_f32 v[26:27], v[26:27], s[6:7], v[54:55] op_sel_hi:[1,0,1]
	v_pk_fma_f32 v[60:61], v[52:53], s[6:7], v[62:63] op_sel_hi:[1,0,1]
	;; [unrolled: 1-line block ×3, first 2 shown]
	v_mov_b32_e32 v37, v39
	v_mov_b32_e32 v49, v51
	;; [unrolled: 1-line block ×4, first 2 shown]
	ds_write_b64 v7, v[26:27] offset:160
	v_mad_legacy_u16 v26, v86, 25, v87
	ds_write2_b64 v7, v[60:61], v[16:17] offset0:10 offset1:15
	v_pk_add_f32 v[16:17], v[36:37], v[48:49] neg_lo:[0,1] neg_hi:[0,1]
	v_pk_add_f32 v[38:39], v[64:65], v[44:45] neg_lo:[0,1] neg_hi:[0,1]
	v_lshlrev_b32_e32 v173, 3, v26
	v_pk_add_f32 v[26:27], v[48:49], v[44:45]
	v_pk_add_f32 v[16:17], v[16:17], v[38:39]
	v_pk_fma_f32 v[26:27], v[26:27], 0.5, v[18:19] op_sel_hi:[1,0,1] neg_lo:[1,0,0] neg_hi:[1,0,0]
	v_pk_add_f32 v[38:39], v[36:37], v[64:65] neg_lo:[0,1] neg_hi:[0,1]
	v_pk_add_f32 v[50:51], v[48:49], v[44:45] neg_lo:[0,1] neg_hi:[0,1]
	v_pk_fma_f32 v[46:47], v[38:39], s[2:3], v[26:27] op_sel:[1,0,0] op_sel_hi:[0,0,1] neg_lo:[1,0,0] neg_hi:[1,0,0]
	v_pk_fma_f32 v[26:27], v[38:39], s[2:3], v[26:27] op_sel:[1,0,0] op_sel_hi:[0,0,1]
	v_pk_add_f32 v[52:53], v[18:19], v[36:37]
	v_pk_fma_f32 v[26:27], v[50:51], s[8:9], v[26:27] op_sel:[1,0,0] op_sel_hi:[0,0,1]
	v_pk_fma_f32 v[46:47], v[50:51], s[8:9], v[46:47] op_sel:[1,0,0] op_sel_hi:[0,0,1] neg_lo:[1,0,0] neg_hi:[1,0,0]
	v_pk_add_f32 v[52:53], v[52:53], v[48:49]
	v_mov_b32_e32 v55, v27
	v_pk_add_f32 v[52:53], v[52:53], v[44:45]
	v_mov_b32_e32 v27, v47
	v_pk_add_f32 v[52:53], v[52:53], v[64:65]
	v_pk_fma_f32 v[26:27], v[16:17], s[6:7], v[26:27] op_sel_hi:[1,0,1]
	ds_write2_b64 v7, v[76:77], v[82:83] offset1:5
	ds_write2_b64 v173, v[52:53], v[26:27] offset1:5
	v_pk_add_f32 v[26:27], v[36:37], v[64:65]
	v_mov_b32_e32 v170, v23
	v_pk_fma_f32 v[18:19], v[26:27], 0.5, v[18:19] op_sel_hi:[1,0,1] neg_lo:[1,0,0] neg_hi:[1,0,0]
	v_pk_add_f32 v[26:27], v[48:49], v[36:37] neg_lo:[0,1] neg_hi:[0,1]
	v_pk_add_f32 v[36:37], v[44:45], v[64:65] neg_lo:[0,1] neg_hi:[0,1]
	v_mov_b32_e32 v54, v46
	v_pk_add_f32 v[26:27], v[26:27], v[36:37]
	v_pk_fma_f32 v[36:37], v[50:51], s[2:3], v[18:19] op_sel:[1,0,0] op_sel_hi:[0,0,1]
	v_pk_fma_f32 v[18:19], v[50:51], s[2:3], v[18:19] op_sel:[1,0,0] op_sel_hi:[0,0,1] neg_lo:[1,0,0] neg_hi:[1,0,0]
	v_pk_fma_f32 v[18:19], v[38:39], s[8:9], v[18:19] op_sel:[1,0,0] op_sel_hi:[0,0,1]
	v_pk_fma_f32 v[36:37], v[38:39], s[8:9], v[36:37] op_sel:[1,0,0] op_sel_hi:[0,0,1] neg_lo:[1,0,0] neg_hi:[1,0,0]
	v_mov_b32_e32 v38, v36
	v_mov_b32_e32 v39, v19
	;; [unrolled: 1-line block ×3, first 2 shown]
	v_pk_fma_f32 v[36:37], v[26:27], s[6:7], v[38:39] op_sel_hi:[1,0,1]
	v_pk_fma_f32 v[18:19], v[26:27], s[6:7], v[18:19] op_sel_hi:[1,0,1]
	ds_write2_b64 v173, v[18:19], v[36:37] offset0:10 offset1:15
	v_pk_mul_f32 v[18:19], v[78:79], v[170:171] op_sel_hi:[1,0]
	v_pk_fma_f32 v[16:17], v[16:17], s[6:7], v[54:55] op_sel_hi:[1,0,1]
	v_pk_fma_f32 v[26:27], v[78:79], v[22:23], v[18:19] op_sel:[0,0,1] op_sel_hi:[1,1,0] neg_lo:[0,0,1] neg_hi:[0,0,1]
	v_pk_fma_f32 v[18:19], v[78:79], v[22:23], v[18:19] op_sel:[0,0,1] op_sel_hi:[1,0,0]
	v_mov_b32_e32 v35, v33
	v_mov_b32_e32 v57, v59
	;; [unrolled: 1-line block ×4, first 2 shown]
	ds_write_b64 v173, v[16:17] offset:160
	v_mad_legacy_u16 v16, v84, 25, v85
	v_pk_add_f32 v[18:19], v[34:35], v[56:57] neg_lo:[0,1] neg_hi:[0,1]
	v_pk_add_f32 v[32:33], v[26:27], v[40:41] neg_lo:[0,1] neg_hi:[0,1]
	v_lshlrev_b32_e32 v175, 3, v16
	v_pk_add_f32 v[16:17], v[56:57], v[40:41]
	v_pk_add_f32 v[18:19], v[18:19], v[32:33]
	v_pk_fma_f32 v[16:17], v[16:17], 0.5, v[24:25] op_sel_hi:[1,0,1] neg_lo:[1,0,0] neg_hi:[1,0,0]
	v_pk_add_f32 v[32:33], v[34:35], v[26:27] neg_lo:[0,1] neg_hi:[0,1]
	v_pk_add_f32 v[38:39], v[56:57], v[40:41] neg_lo:[0,1] neg_hi:[0,1]
	v_pk_fma_f32 v[36:37], v[32:33], s[2:3], v[16:17] op_sel:[1,0,0] op_sel_hi:[0,0,1] neg_lo:[1,0,0] neg_hi:[1,0,0]
	v_pk_fma_f32 v[16:17], v[32:33], s[2:3], v[16:17] op_sel:[1,0,0] op_sel_hi:[0,0,1]
	v_pk_add_f32 v[42:43], v[24:25], v[34:35]
	v_pk_fma_f32 v[16:17], v[38:39], s[8:9], v[16:17] op_sel:[1,0,0] op_sel_hi:[0,0,1]
	v_pk_fma_f32 v[36:37], v[38:39], s[8:9], v[36:37] op_sel:[1,0,0] op_sel_hi:[0,0,1] neg_lo:[1,0,0] neg_hi:[1,0,0]
	v_pk_add_f32 v[42:43], v[42:43], v[56:57]
	v_mov_b32_e32 v45, v17
	v_pk_add_f32 v[42:43], v[42:43], v[40:41]
	v_mov_b32_e32 v17, v37
	v_pk_add_f32 v[42:43], v[42:43], v[26:27]
	v_pk_fma_f32 v[16:17], v[18:19], s[6:7], v[16:17] op_sel_hi:[1,0,1]
	ds_write2_b64 v175, v[42:43], v[16:17] offset1:5
	v_pk_add_f32 v[16:17], v[34:35], v[26:27]
	v_pk_add_f32 v[26:27], v[40:41], v[26:27] neg_lo:[0,1] neg_hi:[0,1]
	v_pk_fma_f32 v[16:17], v[16:17], 0.5, v[24:25] op_sel_hi:[1,0,1] neg_lo:[1,0,0] neg_hi:[1,0,0]
	v_pk_add_f32 v[24:25], v[56:57], v[34:35] neg_lo:[0,1] neg_hi:[0,1]
	v_mov_b32_e32 v44, v36
	v_pk_add_f32 v[24:25], v[24:25], v[26:27]
	v_pk_fma_f32 v[26:27], v[38:39], s[2:3], v[16:17] op_sel:[1,0,0] op_sel_hi:[0,0,1]
	v_pk_fma_f32 v[16:17], v[38:39], s[2:3], v[16:17] op_sel:[1,0,0] op_sel_hi:[0,0,1] neg_lo:[1,0,0] neg_hi:[1,0,0]
	v_pk_fma_f32 v[16:17], v[32:33], s[8:9], v[16:17] op_sel:[1,0,0] op_sel_hi:[0,0,1]
	v_pk_fma_f32 v[26:27], v[32:33], s[8:9], v[26:27] op_sel:[1,0,0] op_sel_hi:[0,0,1] neg_lo:[1,0,0] neg_hi:[1,0,0]
	v_mov_b32_e32 v32, v26
	v_mov_b32_e32 v33, v17
	;; [unrolled: 1-line block ×3, first 2 shown]
	v_pk_fma_f32 v[26:27], v[24:25], s[6:7], v[32:33] op_sel_hi:[1,0,1]
	v_pk_fma_f32 v[16:17], v[24:25], s[6:7], v[16:17] op_sel_hi:[1,0,1]
	ds_write2_b64 v175, v[16:17], v[26:27] offset0:10 offset1:15
	v_pk_fma_f32 v[16:17], v[18:19], s[6:7], v[44:45] op_sel_hi:[1,0,1]
	s_movk_i32 s9, 0x47af
	ds_write_b64 v175, v[16:17] offset:160
	v_mul_u32_u24_sdwa v16, v80, s9 dst_sel:DWORD dst_unused:UNUSED_PAD src0_sel:WORD_0 src1_sel:DWORD
	v_sub_u16_sdwa v17, v80, v16 dst_sel:DWORD dst_unused:UNUSED_PAD src0_sel:DWORD src1_sel:WORD_1
	v_lshrrev_b16_e32 v17, 1, v17
	v_add_u16_sdwa v16, v17, v16 dst_sel:DWORD dst_unused:UNUSED_PAD src0_sel:DWORD src1_sel:WORD_1
	v_mul_u32_u24_sdwa v17, v96, s9 dst_sel:DWORD dst_unused:UNUSED_PAD src0_sel:WORD_0 src1_sel:DWORD
	v_sub_u16_sdwa v18, v96, v17 dst_sel:DWORD dst_unused:UNUSED_PAD src0_sel:DWORD src1_sel:WORD_1
	v_lshrrev_b16_e32 v18, 1, v18
	v_add_u16_sdwa v17, v18, v17 dst_sel:DWORD dst_unused:UNUSED_PAD src0_sel:DWORD src1_sel:WORD_1
	v_lshrrev_b16_e32 v97, 4, v16
	v_mul_lo_u16_e32 v16, 25, v97
	v_lshrrev_b16_e32 v174, 4, v17
	v_sub_u16_e32 v172, v80, v16
	v_mul_lo_u16_e32 v16, 25, v174
	v_sub_u16_e32 v178, v96, v16
	v_lshlrev_b16_e32 v16, 5, v178
	v_mov_b32_e32 v17, v109
	v_lshl_add_u64 v[32:33], s[10:11], 0, v[16:17]
	s_waitcnt lgkmcnt(0)
	s_barrier
	global_load_dwordx4 v[16:19], v[32:33], off offset:160
	v_lshlrev_b16_e32 v24, 5, v172
	v_mov_b32_e32 v25, v109
	v_lshl_add_u64 v[34:35], s[10:11], 0, v[24:25]
	global_load_dwordx4 v[24:27], v[34:35], off offset:160
	global_load_dwordx4 v[40:43], v[32:33], off offset:176
	;; [unrolled: 1-line block ×3, first 2 shown]
	v_mov_b32_e32 v32, 41
	v_mul_lo_u16_sdwa v32, v116, v32 dst_sel:DWORD dst_unused:UNUSED_PAD src0_sel:BYTE_0 src1_sel:DWORD
	v_lshrrev_b16_e32 v106, 10, v32
	v_mul_lo_u16_e32 v32, 25, v106
	v_sub_u16_e32 v32, v116, v32
	v_and_b32_e32 v107, 0xff, v32
	v_lshlrev_b32_e32 v48, 5, v107
	global_load_dwordx4 v[32:35], v48, s[10:11] offset:160
	global_load_dwordx4 v[44:47], v48, s[10:11] offset:176
	ds_read2_b64 v[48:51], v153 offset0:4 offset1:229
	ds_read2_b64 v[52:55], v151 offset0:10 offset1:235
	s_waitcnt vmcnt(5) lgkmcnt(1)
	v_pk_mul_f32 v[56:57], v[50:51], v[16:17] op_sel:[0,1]
	s_nop 0
	v_pk_fma_f32 v[58:59], v[50:51], v[16:17], v[56:57] op_sel:[0,0,1] op_sel_hi:[1,1,0] neg_lo:[0,0,1] neg_hi:[0,0,1]
	v_pk_fma_f32 v[56:57], v[50:51], v[16:17], v[56:57] op_sel:[0,0,1] op_sel_hi:[1,0,0]
	s_waitcnt vmcnt(4)
	v_pk_mul_f32 v[50:51], v[48:49], v[24:25] op_sel:[0,1]
	v_mov_b32_e32 v160, v27
	v_pk_fma_f32 v[60:61], v[48:49], v[24:25], v[50:51] op_sel:[0,0,1] op_sel_hi:[1,1,0] neg_lo:[0,0,1] neg_hi:[0,0,1]
	v_pk_fma_f32 v[62:63], v[48:49], v[24:25], v[50:51] op_sel:[0,0,1] op_sel_hi:[1,0,0]
	s_waitcnt vmcnt(3) lgkmcnt(0)
	v_pk_mul_f32 v[48:49], v[54:55], v[40:41] op_sel:[0,1]
	v_mov_b32_e32 v162, v19
	v_pk_fma_f32 v[64:65], v[54:55], v[40:41], v[48:49] op_sel:[0,0,1] op_sel_hi:[1,1,0] neg_lo:[0,0,1] neg_hi:[0,0,1]
	v_pk_fma_f32 v[66:67], v[54:55], v[40:41], v[48:49] op_sel:[0,0,1] op_sel_hi:[1,0,0]
	ds_read2_b64 v[48:51], v157 offset0:6 offset1:231
	s_waitcnt vmcnt(2)
	v_pk_mul_f32 v[54:55], v[52:53], v[36:37] op_sel:[0,1]
	s_waitcnt vmcnt(1)
	v_mov_b32_e32 v158, v35
	v_pk_fma_f32 v[68:69], v[52:53], v[36:37], v[54:55] op_sel:[0,0,1] op_sel_hi:[1,1,0] neg_lo:[0,0,1] neg_hi:[0,0,1]
	v_pk_fma_f32 v[70:71], v[52:53], v[36:37], v[54:55] op_sel:[0,0,1] op_sel_hi:[1,0,0]
	s_waitcnt lgkmcnt(0)
	v_pk_mul_f32 v[52:53], v[50:51], v[160:161] op_sel_hi:[1,0]
	v_pk_mul_f32 v[54:55], v[48:49], v[158:159] op_sel_hi:[1,0]
	v_pk_fma_f32 v[72:73], v[50:51], v[26:27], v[52:53] op_sel:[0,0,1] op_sel_hi:[1,1,0] neg_lo:[0,0,1] neg_hi:[0,0,1]
	v_pk_fma_f32 v[74:75], v[50:51], v[26:27], v[52:53] op_sel:[0,0,1] op_sel_hi:[1,0,0]
	ds_read2_b64 v[50:53], v159 offset0:8 offset1:233
	v_pk_fma_f32 v[76:77], v[48:49], v[34:35], v[54:55] op_sel:[0,0,1] op_sel_hi:[1,1,0] neg_lo:[0,0,1] neg_hi:[0,0,1]
	v_pk_fma_f32 v[54:55], v[48:49], v[34:35], v[54:55] op_sel:[0,0,1] op_sel_hi:[1,0,0]
	v_mov_b32_e32 v168, v39
	s_waitcnt vmcnt(0)
	v_mov_b32_e32 v166, v47
	s_waitcnt lgkmcnt(0)
	v_pk_mul_f32 v[48:49], v[50:51], v[162:163] op_sel_hi:[1,0]
	v_pk_mul_f32 v[84:85], v[52:53], v[44:45] op_sel:[0,1]
	v_pk_fma_f32 v[78:79], v[50:51], v[18:19], v[48:49] op_sel:[0,0,1] op_sel_hi:[1,1,0] neg_lo:[0,0,1] neg_hi:[0,0,1]
	v_pk_fma_f32 v[82:83], v[50:51], v[18:19], v[48:49] op_sel:[0,0,1] op_sel_hi:[1,0,0]
	ds_read2_b64 v[48:51], v155 offset0:12 offset1:237
	v_pk_fma_f32 v[86:87], v[52:53], v[44:45], v[84:85] op_sel:[0,0,1] op_sel_hi:[1,1,0] neg_lo:[0,0,1] neg_hi:[0,0,1]
	v_pk_fma_f32 v[84:85], v[52:53], v[44:45], v[84:85] op_sel:[0,0,1] op_sel_hi:[1,0,0]
	v_mov_b32_e32 v77, v55
	v_mov_b32_e32 v87, v85
	s_waitcnt lgkmcnt(0)
	v_pk_mul_f32 v[52:53], v[50:51], v[168:169] op_sel_hi:[1,0]
	v_pk_mul_f32 v[92:93], v[48:49], v[166:167] op_sel_hi:[1,0]
	v_pk_fma_f32 v[88:89], v[50:51], v[38:39], v[52:53] op_sel:[0,0,1] op_sel_hi:[1,1,0] neg_lo:[0,0,1] neg_hi:[0,0,1]
	v_pk_fma_f32 v[90:91], v[50:51], v[38:39], v[52:53] op_sel:[0,0,1] op_sel_hi:[1,0,0]
	ds_read2_b64 v[50:53], v161 offset0:2 offset1:227
	v_pk_fma_f32 v[94:95], v[48:49], v[46:47], v[92:93] op_sel:[0,0,1] op_sel_hi:[1,1,0] neg_lo:[0,0,1] neg_hi:[0,0,1]
	v_pk_fma_f32 v[48:49], v[48:49], v[46:47], v[92:93] op_sel:[0,0,1] op_sel_hi:[1,0,0]
	v_mul_u32_u24_e32 v19, 0x7d, v106
	v_mov_b32_e32 v95, v49
	s_waitcnt lgkmcnt(0)
	v_pk_mul_f32 v[92:93], v[52:53], v[32:33] op_sel:[0,1]
	v_pk_add_f32 v[84:85], v[94:95], v[86:87] neg_lo:[0,1] neg_hi:[0,1]
	v_pk_fma_f32 v[98:99], v[52:53], v[32:33], v[92:93] op_sel:[0,0,1] op_sel_hi:[1,1,0] neg_lo:[0,0,1] neg_hi:[0,0,1]
	v_pk_fma_f32 v[52:53], v[52:53], v[32:33], v[92:93] op_sel:[0,0,1] op_sel_hi:[1,0,0]
	v_add_lshl_u32 v19, v19, v107, 3
	v_mov_b32_e32 v99, v53
	ds_read2_b64 v[52:55], v108 offset1:225
	v_pk_add_f32 v[48:49], v[98:99], v[76:77] neg_lo:[0,1] neg_hi:[0,1]
	v_pk_add_f32 v[92:93], v[98:99], v[94:95] neg_lo:[0,1] neg_hi:[0,1]
	v_pk_add_f32 v[48:49], v[48:49], v[84:85]
	v_pk_add_f32 v[84:85], v[76:77], v[86:87]
	v_pk_mul_f32 v[100:101], v[92:93], s[2:3] op_sel_hi:[1,0]
	s_waitcnt lgkmcnt(0)
	v_pk_fma_f32 v[84:85], v[84:85], 0.5, v[52:53] op_sel_hi:[1,0,1] neg_lo:[1,0,0] neg_hi:[1,0,0]
	ds_read_b64 v[106:107], v108 offset:25200
	v_pk_add_f32 v[102:103], v[84:85], v[100:101] op_sel:[0,1] op_sel_hi:[1,0]
	v_pk_add_f32 v[84:85], v[84:85], v[100:101] op_sel:[0,1] op_sel_hi:[1,0] neg_lo:[0,1] neg_hi:[0,1]
	v_pk_add_f32 v[100:101], v[76:77], v[86:87] neg_lo:[0,1] neg_hi:[0,1]
	s_waitcnt lgkmcnt(0)
	v_pk_mul_f32 v[104:105], v[100:101], s[8:9] op_sel_hi:[1,0]
	s_barrier
	v_pk_add_f32 v[84:85], v[84:85], v[104:105] op_sel:[0,1] op_sel_hi:[1,0] neg_lo:[0,1] neg_hi:[0,1]
	v_pk_add_f32 v[102:103], v[102:103], v[104:105] op_sel:[0,1] op_sel_hi:[1,0]
	v_pk_add_f32 v[104:105], v[52:53], v[98:99]
	v_mov_b32_e32 v176, v102
	v_pk_add_f32 v[104:105], v[104:105], v[76:77]
	v_pk_add_f32 v[76:77], v[76:77], v[98:99] neg_lo:[0,1] neg_hi:[0,1]
	v_pk_add_f32 v[104:105], v[104:105], v[86:87]
	v_pk_add_f32 v[98:99], v[98:99], v[94:95]
	v_pk_add_f32 v[86:87], v[86:87], v[94:95] neg_lo:[0,1] neg_hi:[0,1]
	v_pk_fma_f32 v[52:53], v[98:99], 0.5, v[52:53] op_sel_hi:[1,0,1] neg_lo:[1,0,0] neg_hi:[1,0,0]
	v_pk_add_f32 v[76:77], v[76:77], v[86:87]
	v_pk_mul_f32 v[86:87], v[100:101], s[2:3] op_sel_hi:[1,0]
	v_pk_add_f32 v[104:105], v[104:105], v[94:95]
	v_pk_add_f32 v[94:95], v[52:53], v[86:87] op_sel:[0,1] op_sel_hi:[1,0] neg_lo:[0,1] neg_hi:[0,1]
	v_pk_add_f32 v[52:53], v[52:53], v[86:87] op_sel:[0,1] op_sel_hi:[1,0]
	v_pk_mul_f32 v[86:87], v[92:93], s[8:9] op_sel_hi:[1,0]
	v_mov_b32_e32 v177, v85
	v_pk_add_f32 v[52:53], v[52:53], v[86:87] op_sel:[0,1] op_sel_hi:[1,0] neg_lo:[0,1] neg_hi:[0,1]
	v_pk_add_f32 v[86:87], v[94:95], v[86:87] op_sel:[0,1] op_sel_hi:[1,0]
	v_mov_b32_e32 v85, v103
	v_pk_fma_f32 v[176:177], v[48:49], s[6:7], v[176:177] op_sel_hi:[1,0,1]
	v_mov_b32_e32 v92, v86
	v_mov_b32_e32 v93, v53
	;; [unrolled: 1-line block ×3, first 2 shown]
	v_pk_fma_f32 v[48:49], v[48:49], s[6:7], v[84:85] op_sel_hi:[1,0,1]
	s_movk_i32 s9, 0x7d
	v_pk_fma_f32 v[86:87], v[76:77], s[6:7], v[92:93] op_sel_hi:[1,0,1]
	v_pk_fma_f32 v[52:53], v[76:77], s[6:7], v[52:53] op_sel_hi:[1,0,1]
	v_mov_b32_e32 v61, v63
	v_mov_b32_e32 v73, v75
	;; [unrolled: 1-line block ×4, first 2 shown]
	ds_write_b64 v19, v[48:49] offset:800
	v_mad_legacy_u16 v48, v97, s9, v172
	ds_write2_b64 v19, v[104:105], v[176:177] offset1:25
	ds_write2_b64 v19, v[86:87], v[52:53] offset0:50 offset1:75
	v_pk_add_f32 v[52:53], v[60:61], v[72:73] neg_lo:[0,1] neg_hi:[0,1]
	v_pk_add_f32 v[62:63], v[88:89], v[68:69] neg_lo:[0,1] neg_hi:[0,1]
	v_lshlrev_b32_e32 v177, 3, v48
	v_pk_add_f32 v[48:49], v[72:73], v[68:69]
	v_pk_add_f32 v[52:53], v[52:53], v[62:63]
	v_pk_fma_f32 v[48:49], v[48:49], 0.5, v[54:55] op_sel_hi:[1,0,1] neg_lo:[1,0,0] neg_hi:[1,0,0]
	v_pk_add_f32 v[62:63], v[60:61], v[88:89] neg_lo:[0,1] neg_hi:[0,1]
	v_pk_add_f32 v[74:75], v[72:73], v[68:69] neg_lo:[0,1] neg_hi:[0,1]
	v_pk_fma_f32 v[70:71], v[62:63], s[2:3], v[48:49] op_sel:[1,0,0] op_sel_hi:[0,0,1] neg_lo:[1,0,0] neg_hi:[1,0,0]
	v_pk_fma_f32 v[48:49], v[62:63], s[2:3], v[48:49] op_sel:[1,0,0] op_sel_hi:[0,0,1]
	v_pk_add_f32 v[76:77], v[54:55], v[60:61]
	v_pk_fma_f32 v[48:49], v[74:75], s[8:9], v[48:49] op_sel:[1,0,0] op_sel_hi:[0,0,1]
	v_pk_fma_f32 v[70:71], v[74:75], s[8:9], v[70:71] op_sel:[1,0,0] op_sel_hi:[0,0,1] neg_lo:[1,0,0] neg_hi:[1,0,0]
	v_pk_add_f32 v[76:77], v[76:77], v[72:73]
	v_mov_b32_e32 v85, v49
	v_pk_add_f32 v[76:77], v[76:77], v[68:69]
	v_mov_b32_e32 v49, v71
	v_pk_add_f32 v[76:77], v[76:77], v[88:89]
	v_pk_fma_f32 v[48:49], v[52:53], s[6:7], v[48:49] op_sel_hi:[1,0,1]
	ds_write2_b64 v177, v[76:77], v[48:49] offset1:25
	v_pk_add_f32 v[48:49], v[60:61], v[88:89]
	v_mov_b32_e32 v180, v43
	v_pk_fma_f32 v[48:49], v[48:49], 0.5, v[54:55] op_sel_hi:[1,0,1] neg_lo:[1,0,0] neg_hi:[1,0,0]
	v_pk_add_f32 v[54:55], v[72:73], v[60:61] neg_lo:[0,1] neg_hi:[0,1]
	v_pk_add_f32 v[60:61], v[68:69], v[88:89] neg_lo:[0,1] neg_hi:[0,1]
	v_mov_b32_e32 v84, v70
	v_pk_add_f32 v[54:55], v[54:55], v[60:61]
	v_pk_fma_f32 v[60:61], v[74:75], s[2:3], v[48:49] op_sel:[1,0,0] op_sel_hi:[0,0,1]
	v_pk_fma_f32 v[48:49], v[74:75], s[2:3], v[48:49] op_sel:[1,0,0] op_sel_hi:[0,0,1] neg_lo:[1,0,0] neg_hi:[1,0,0]
	v_pk_fma_f32 v[48:49], v[62:63], s[8:9], v[48:49] op_sel:[1,0,0] op_sel_hi:[0,0,1]
	v_pk_fma_f32 v[60:61], v[62:63], s[8:9], v[60:61] op_sel:[1,0,0] op_sel_hi:[0,0,1] neg_lo:[1,0,0] neg_hi:[1,0,0]
	v_mov_b32_e32 v62, v60
	v_mov_b32_e32 v63, v49
	;; [unrolled: 1-line block ×3, first 2 shown]
	v_pk_fma_f32 v[60:61], v[54:55], s[6:7], v[62:63] op_sel_hi:[1,0,1]
	v_pk_fma_f32 v[48:49], v[54:55], s[6:7], v[48:49] op_sel_hi:[1,0,1]
	ds_write2_b64 v177, v[48:49], v[60:61] offset0:50 offset1:75
	v_pk_mul_f32 v[48:49], v[106:107], v[180:181] op_sel_hi:[1,0]
	v_pk_fma_f32 v[52:53], v[52:53], s[6:7], v[84:85] op_sel_hi:[1,0,1]
	v_pk_fma_f32 v[54:55], v[106:107], v[42:43], v[48:49] op_sel:[0,0,1] op_sel_hi:[1,1,0] neg_lo:[0,0,1] neg_hi:[0,0,1]
	v_pk_fma_f32 v[48:49], v[106:107], v[42:43], v[48:49] op_sel:[0,0,1] op_sel_hi:[1,0,0]
	v_mov_b32_e32 v59, v57
	v_mov_b32_e32 v79, v83
	;; [unrolled: 1-line block ×4, first 2 shown]
	ds_write_b64 v177, v[52:53] offset:800
	v_mad_legacy_u16 v52, v174, s9, v178
	v_pk_add_f32 v[48:49], v[58:59], v[78:79] neg_lo:[0,1] neg_hi:[0,1]
	v_pk_add_f32 v[56:57], v[54:55], v[64:65] neg_lo:[0,1] neg_hi:[0,1]
	v_lshlrev_b32_e32 v179, 3, v52
	v_pk_add_f32 v[52:53], v[78:79], v[64:65]
	v_pk_add_f32 v[48:49], v[48:49], v[56:57]
	v_pk_fma_f32 v[52:53], v[52:53], 0.5, v[50:51] op_sel_hi:[1,0,1] neg_lo:[1,0,0] neg_hi:[1,0,0]
	v_pk_add_f32 v[56:57], v[58:59], v[54:55] neg_lo:[0,1] neg_hi:[0,1]
	v_pk_add_f32 v[62:63], v[78:79], v[64:65] neg_lo:[0,1] neg_hi:[0,1]
	v_pk_fma_f32 v[60:61], v[56:57], s[2:3], v[52:53] op_sel:[1,0,0] op_sel_hi:[0,0,1] neg_lo:[1,0,0] neg_hi:[1,0,0]
	v_pk_fma_f32 v[52:53], v[56:57], s[2:3], v[52:53] op_sel:[1,0,0] op_sel_hi:[0,0,1]
	v_pk_add_f32 v[66:67], v[50:51], v[58:59]
	v_pk_fma_f32 v[52:53], v[62:63], s[8:9], v[52:53] op_sel:[1,0,0] op_sel_hi:[0,0,1]
	v_pk_fma_f32 v[60:61], v[62:63], s[8:9], v[60:61] op_sel:[1,0,0] op_sel_hi:[0,0,1] neg_lo:[1,0,0] neg_hi:[1,0,0]
	v_pk_add_f32 v[66:67], v[66:67], v[78:79]
	v_mov_b32_e32 v69, v53
	v_pk_add_f32 v[66:67], v[66:67], v[64:65]
	v_mov_b32_e32 v53, v61
	v_mov_b32_e32 v68, v60
	v_pk_add_f32 v[66:67], v[66:67], v[54:55]
	v_pk_fma_f32 v[52:53], v[48:49], s[6:7], v[52:53] op_sel_hi:[1,0,1]
	v_pk_fma_f32 v[48:49], v[48:49], s[6:7], v[68:69] op_sel_hi:[1,0,1]
	v_lshl_add_u64 v[104:105], v[116:117], 0, s[12:13]
	ds_write2_b64 v179, v[66:67], v[52:53] offset1:25
	v_pk_add_f32 v[52:53], v[58:59], v[54:55]
	ds_write_b64 v179, v[48:49] offset:800
	v_mul_u32_u24_sdwa v48, v104, s14 dst_sel:DWORD dst_unused:UNUSED_PAD src0_sel:WORD_0 src1_sel:DWORD
	v_pk_fma_f32 v[50:51], v[52:53], 0.5, v[50:51] op_sel_hi:[1,0,1] neg_lo:[1,0,0] neg_hi:[1,0,0]
	v_pk_add_f32 v[52:53], v[78:79], v[58:59] neg_lo:[0,1] neg_hi:[0,1]
	v_pk_add_f32 v[54:55], v[64:65], v[54:55] neg_lo:[0,1] neg_hi:[0,1]
	v_sub_u16_sdwa v49, v104, v48 dst_sel:DWORD dst_unused:UNUSED_PAD src0_sel:DWORD src1_sel:WORD_1
	v_pk_add_f32 v[52:53], v[52:53], v[54:55]
	v_pk_fma_f32 v[54:55], v[62:63], s[2:3], v[50:51] op_sel:[1,0,0] op_sel_hi:[0,0,1]
	v_pk_fma_f32 v[50:51], v[62:63], s[2:3], v[50:51] op_sel:[1,0,0] op_sel_hi:[0,0,1] neg_lo:[1,0,0] neg_hi:[1,0,0]
	v_lshrrev_b16_e32 v49, 1, v49
	v_pk_fma_f32 v[50:51], v[56:57], s[8:9], v[50:51] op_sel:[1,0,0] op_sel_hi:[0,0,1]
	v_pk_fma_f32 v[54:55], v[56:57], s[8:9], v[54:55] op_sel:[1,0,0] op_sel_hi:[0,0,1] neg_lo:[1,0,0] neg_hi:[1,0,0]
	v_add_u16_sdwa v48, v49, v48 dst_sel:DWORD dst_unused:UNUSED_PAD src0_sel:DWORD src1_sel:WORD_1
	s_mov_b64 s[12:13], 0x2a3
	v_mov_b32_e32 v56, v54
	v_mov_b32_e32 v57, v51
	;; [unrolled: 1-line block ×3, first 2 shown]
	v_lshrrev_b16_e32 v97, 6, v48
	v_lshl_add_u64 v[100:101], v[116:117], 0, s[12:13]
	v_pk_fma_f32 v[54:55], v[52:53], s[6:7], v[56:57] op_sel_hi:[1,0,1]
	v_pk_fma_f32 v[50:51], v[52:53], s[6:7], v[50:51] op_sel_hi:[1,0,1]
	v_mul_lo_u16_e32 v48, 0x7d, v97
	v_mul_u32_u24_sdwa v52, v100, s14 dst_sel:DWORD dst_unused:UNUSED_PAD src0_sel:WORD_0 src1_sel:DWORD
	v_sub_u16_e32 v105, v104, v48
	v_sub_u16_sdwa v53, v100, v52 dst_sel:DWORD dst_unused:UNUSED_PAD src0_sel:DWORD src1_sel:WORD_1
	v_lshlrev_b16_e32 v48, 4, v105
	v_mov_b32_e32 v49, v109
	v_lshrrev_b16_e32 v53, 1, v53
	v_lshl_add_u64 v[48:49], s[10:11], 0, v[48:49]
	v_add_u16_sdwa v52, v53, v52 dst_sel:DWORD dst_unused:UNUSED_PAD src0_sel:DWORD src1_sel:WORD_1
	ds_write2_b64 v179, v[50:51], v[54:55] offset0:50 offset1:75
	s_waitcnt lgkmcnt(0)
	s_barrier
	global_load_dwordx4 v[48:51], v[48:49], off offset:960
	v_lshrrev_b16_e32 v101, 6, v52
	v_mul_lo_u16_e32 v52, 0x7d, v101
	v_mul_u32_u24_sdwa v54, v96, s14 dst_sel:DWORD dst_unused:UNUSED_PAD src0_sel:WORD_0 src1_sel:DWORD
	v_sub_u16_e32 v181, v100, v52
	v_sub_u16_sdwa v55, v96, v54 dst_sel:DWORD dst_unused:UNUSED_PAD src0_sel:DWORD src1_sel:WORD_1
	v_lshlrev_b16_e32 v52, 4, v181
	v_mov_b32_e32 v53, v109
	v_lshrrev_b16_e32 v55, 1, v55
	v_lshl_add_u64 v[52:53], s[10:11], 0, v[52:53]
	global_load_dwordx4 v[56:59], v[52:53], off offset:960
	v_add_u16_sdwa v54, v55, v54 dst_sel:DWORD dst_unused:UNUSED_PAD src0_sel:DWORD src1_sel:WORD_1
	v_lshrrev_b16_e32 v196, 6, v54
	v_mul_lo_u16_e32 v54, 0x7d, v196
	v_sub_u16_e32 v197, v96, v54
	v_lshlrev_b16_e32 v52, 4, v197
	v_mov_b32_e32 v53, v109
	v_mul_u32_u24_sdwa v60, v80, s14 dst_sel:DWORD dst_unused:UNUSED_PAD src0_sel:WORD_0 src1_sel:DWORD
	v_lshl_add_u64 v[52:53], s[10:11], 0, v[52:53]
	v_sub_u16_sdwa v61, v80, v60 dst_sel:DWORD dst_unused:UNUSED_PAD src0_sel:DWORD src1_sel:WORD_1
	global_load_dwordx4 v[52:55], v[52:53], off offset:960
	v_lshrrev_b16_e32 v61, 1, v61
	v_add_u16_sdwa v60, v61, v60 dst_sel:DWORD dst_unused:UNUSED_PAD src0_sel:DWORD src1_sel:WORD_1
	v_lshrrev_b16_e32 v198, 6, v60
	v_mul_lo_u16_e32 v60, 0x7d, v198
	s_movk_i32 s12, 0xff83
	v_sub_u16_e32 v199, v80, v60
	s_mov_b32 s13, -1
	v_lshlrev_b16_e32 v60, 4, v199
	v_mov_b32_e32 v61, v109
	v_lshl_add_u64 v[64:65], v[116:117], 0, s[12:13]
	v_cmp_gt_u16_e32 vcc, s9, v116
	v_lshl_add_u64 v[60:61], s[10:11], 0, v[60:61]
	global_load_dwordx4 v[60:63], v[60:61], off offset:960
	v_cndmask_b32_e64 v77, v65, 0, vcc
	v_cndmask_b32_e32 v76, v64, v116, vcc
	v_lshl_add_u64 v[64:65], v[76:77], 4, s[10:11]
	global_load_dwordx4 v[64:67], v[64:65], off offset:960
	ds_read2_b64 v[68:71], v159 offset0:8 offset1:233
	s_movk_i32 s9, 0x7c
	v_cmp_lt_u16_e32 vcc, s9, v116
	s_mov_b32 s12, 0x3f5db3d7
	s_movk_i32 s9, 0x177
	s_movk_i32 s14, 0xff6a
	s_mov_b32 s15, -1
	v_lshlrev_b32_e32 v96, 4, v96
	s_waitcnt vmcnt(4) lgkmcnt(0)
	v_pk_mul_f32 v[72:73], v[70:71], v[48:49] op_sel:[0,1]
	s_nop 0
	v_pk_fma_f32 v[78:79], v[70:71], v[48:49], v[72:73] op_sel:[0,0,1] op_sel_hi:[1,1,0] neg_lo:[0,0,1] neg_hi:[0,0,1]
	v_pk_fma_f32 v[82:83], v[70:71], v[48:49], v[72:73] op_sel:[0,0,1] op_sel_hi:[1,0,0]
	ds_read2_b64 v[70:73], v155 offset0:12 offset1:237
	v_mov_b32_e32 v79, v83
	s_waitcnt vmcnt(3)
	v_pk_mul_f32 v[74:75], v[68:69], v[56:57] op_sel:[0,1]
	v_mov_b32_e32 v178, v59
	v_pk_fma_f32 v[84:85], v[68:69], v[56:57], v[74:75] op_sel:[0,0,1] op_sel_hi:[1,1,0] neg_lo:[0,0,1] neg_hi:[0,0,1]
	v_pk_fma_f32 v[86:87], v[68:69], v[56:57], v[74:75] op_sel:[0,0,1] op_sel_hi:[1,0,0]
	s_waitcnt lgkmcnt(0)
	v_pk_mul_f32 v[68:69], v[72:73], v[178:179] op_sel_hi:[1,0]
	v_mov_b32_e32 v85, v87
	v_pk_fma_f32 v[88:89], v[72:73], v[58:59], v[68:69] op_sel:[0,0,1] op_sel_hi:[1,1,0] neg_lo:[0,0,1] neg_hi:[0,0,1]
	v_pk_fma_f32 v[90:91], v[72:73], v[58:59], v[68:69] op_sel:[0,0,1] op_sel_hi:[1,0,0]
	ds_read2_b64 v[72:75], v157 offset0:6 offset1:231
	v_mad_legacy_u16 v59, v198, s9, v199
	s_waitcnt vmcnt(2)
	v_mov_b32_e32 v176, v55
	v_pk_mul_f32 v[68:69], v[70:71], v[176:177] op_sel_hi:[1,0]
	v_lshlrev_b32_e32 v59, 3, v59
	v_pk_fma_f32 v[92:93], v[70:71], v[54:55], v[68:69] op_sel:[0,0,1] op_sel_hi:[1,1,0] neg_lo:[0,0,1] neg_hi:[0,0,1]
	v_pk_fma_f32 v[94:95], v[70:71], v[54:55], v[68:69] op_sel:[0,0,1] op_sel_hi:[1,0,0]
	s_waitcnt lgkmcnt(0)
	v_pk_mul_f32 v[68:69], v[74:75], v[52:53] op_sel:[0,1]
	v_mov_b32_e32 v55, 0x177
	v_pk_fma_f32 v[98:99], v[74:75], v[52:53], v[68:69] op_sel:[0,0,1] op_sel_hi:[1,1,0] neg_lo:[0,0,1] neg_hi:[0,0,1]
	v_pk_fma_f32 v[102:103], v[74:75], v[52:53], v[68:69] op_sel:[0,0,1] op_sel_hi:[1,0,0]
	ds_read2_b64 v[68:71], v151 offset0:10 offset1:235
	v_cndmask_b32_e32 v55, 0, v55, vcc
	v_add_lshl_u32 v55, v76, v55, 3
	v_mov_b32_e32 v99, v103
	s_waitcnt vmcnt(1)
	v_pk_mul_f32 v[74:75], v[72:73], v[60:61] op_sel:[0,1]
	v_mov_b32_e32 v174, v63
	v_pk_fma_f32 v[106:107], v[72:73], v[60:61], v[74:75] op_sel:[0,0,1] op_sel_hi:[1,1,0] neg_lo:[0,0,1] neg_hi:[0,0,1]
	v_pk_fma_f32 v[182:183], v[72:73], v[60:61], v[74:75] op_sel:[0,0,1] op_sel_hi:[1,0,0]
	s_waitcnt lgkmcnt(0)
	v_pk_mul_f32 v[72:73], v[70:71], v[174:175] op_sel_hi:[1,0]
	s_waitcnt vmcnt(0)
	v_mov_b32_e32 v172, v67
	v_pk_fma_f32 v[184:185], v[70:71], v[62:63], v[72:73] op_sel:[0,0,1] op_sel_hi:[1,1,0] neg_lo:[0,0,1] neg_hi:[0,0,1]
	v_pk_fma_f32 v[186:187], v[70:71], v[62:63], v[72:73] op_sel:[0,0,1] op_sel_hi:[1,0,0]
	v_pk_mul_f32 v[70:71], v[68:69], v[172:173] op_sel_hi:[1,0]
	ds_read2_b64 v[72:75], v108 offset1:225
	v_pk_fma_f32 v[188:189], v[68:69], v[66:67], v[70:71] op_sel:[0,0,1] op_sel_hi:[1,1,0] neg_lo:[0,0,1] neg_hi:[0,0,1]
	v_pk_fma_f32 v[190:191], v[68:69], v[66:67], v[70:71] op_sel:[0,0,1] op_sel_hi:[1,0,0]
	ds_read2_b64 v[68:71], v153 offset0:4 offset1:229
	v_mov_b32_e32 v189, v191
	v_mov_b32_e32 v107, v183
	;; [unrolled: 1-line block ×4, first 2 shown]
	s_waitcnt lgkmcnt(0)
	v_pk_mul_f32 v[76:77], v[70:71], v[64:65] op_sel:[0,1]
	v_pk_add_f32 v[94:95], v[98:99], v[92:93] neg_lo:[0,1] neg_hi:[0,1]
	v_pk_fma_f32 v[192:193], v[70:71], v[64:65], v[76:77] op_sel:[0,0,1] op_sel_hi:[1,1,0] neg_lo:[0,0,1] neg_hi:[0,0,1]
	v_pk_fma_f32 v[70:71], v[70:71], v[64:65], v[76:77] op_sel:[0,0,1] op_sel_hi:[1,0,0]
	v_pk_mul_f32 v[94:95], v[94:95], s[12:13] op_sel_hi:[1,0]
	v_mov_b32_e32 v193, v71
	v_pk_add_f32 v[70:71], v[72:73], v[192:193]
	v_mad_legacy_u16 v63, v196, s9, v197
	v_pk_add_f32 v[76:77], v[70:71], v[188:189]
	v_pk_add_f32 v[70:71], v[192:193], v[188:189]
	v_pk_add_f32 v[188:189], v[192:193], v[188:189] neg_lo:[0,1] neg_hi:[0,1]
	v_pk_fma_f32 v[70:71], v[70:71], 0.5, v[72:73] op_sel_hi:[1,0,1] neg_lo:[1,0,0] neg_hi:[1,0,0]
	v_pk_mul_f32 v[72:73], v[188:189], s[12:13] op_sel_hi:[1,0]
	v_lshlrev_b32_e32 v63, 3, v63
	v_pk_add_f32 v[188:189], v[70:71], v[72:73] op_sel:[0,1] op_sel_hi:[1,0]
	v_pk_add_f32 v[190:191], v[70:71], v[72:73] op_sel:[0,1] op_sel_hi:[1,0] neg_lo:[0,1] neg_hi:[0,1]
	v_mov_b32_e32 v194, v188
	v_mov_b32_e32 v195, v191
	ds_read_b64 v[192:193], v108 offset:25200
	ds_read2_b64 v[70:73], v161 offset0:2 offset1:227
	s_waitcnt lgkmcnt(0)
	s_barrier
	ds_write2_b64 v55, v[76:77], v[194:195] offset1:125
	v_pk_add_f32 v[76:77], v[106:107], v[184:185]
	v_mov_b32_e32 v191, v189
	v_pk_fma_f32 v[76:77], v[76:77], 0.5, v[74:75] op_sel_hi:[1,0,1] neg_lo:[1,0,0] neg_hi:[1,0,0]
	v_pk_add_f32 v[74:75], v[74:75], v[106:107]
	v_pk_add_f32 v[106:107], v[106:107], v[184:185] neg_lo:[0,1] neg_hi:[0,1]
	v_pk_add_f32 v[74:75], v[74:75], v[184:185]
	v_pk_mul_f32 v[106:107], v[106:107], s[12:13] op_sel_hi:[1,0]
	ds_write_b64 v55, v[190:191] offset:2000
	v_pk_add_f32 v[182:183], v[76:77], v[106:107] op_sel:[0,1] op_sel_hi:[1,0] neg_lo:[0,1] neg_hi:[0,1]
	v_pk_add_f32 v[76:77], v[76:77], v[106:107] op_sel:[0,1] op_sel_hi:[1,0]
	v_mov_b32_e32 v107, v183
	v_mov_b32_e32 v106, v76
	ds_write2_b64 v59, v[74:75], v[106:107] offset1:125
	v_pk_add_f32 v[74:75], v[98:99], v[92:93]
	v_mov_b32_e32 v183, v77
	v_pk_fma_f32 v[74:75], v[74:75], 0.5, v[70:71] op_sel_hi:[1,0,1] neg_lo:[1,0,0] neg_hi:[1,0,0]
	v_pk_add_f32 v[70:71], v[70:71], v[98:99]
	v_pk_add_f32 v[102:103], v[74:75], v[94:95] op_sel:[0,1] op_sel_hi:[1,0] neg_lo:[0,1] neg_hi:[0,1]
	v_pk_add_f32 v[74:75], v[74:75], v[94:95] op_sel:[0,1] op_sel_hi:[1,0]
	v_pk_add_f32 v[70:71], v[70:71], v[92:93]
	v_mov_b32_e32 v76, v74
	v_mov_b32_e32 v77, v103
	;; [unrolled: 1-line block ×3, first 2 shown]
	ds_write_b64 v59, v[182:183] offset:2000
	ds_write2_b64 v63, v[70:71], v[76:77] offset1:125
	v_pk_add_f32 v[70:71], v[84:85], v[88:89]
	v_pk_add_f32 v[76:77], v[84:85], v[88:89] neg_lo:[0,1] neg_hi:[0,1]
	v_pk_fma_f32 v[70:71], v[70:71], 0.5, v[72:73] op_sel_hi:[1,0,1] neg_lo:[1,0,0] neg_hi:[1,0,0]
	v_pk_mul_f32 v[76:77], v[76:77], s[12:13] op_sel_hi:[1,0]
	v_pk_add_f32 v[72:73], v[72:73], v[84:85]
	v_pk_add_f32 v[84:85], v[70:71], v[76:77] op_sel:[0,1] op_sel_hi:[1,0] neg_lo:[0,1] neg_hi:[0,1]
	v_pk_add_f32 v[70:71], v[70:71], v[76:77] op_sel:[0,1] op_sel_hi:[1,0]
	v_mad_legacy_u16 v67, v101, s9, v181
	v_mov_b32_e32 v103, v75
	v_pk_add_f32 v[72:73], v[72:73], v[88:89]
	v_lshlrev_b32_e32 v67, 3, v67
	v_mov_b32_e32 v74, v70
	v_mov_b32_e32 v75, v85
	;; [unrolled: 1-line block ×3, first 2 shown]
	ds_write_b64 v63, v[102:103] offset:2000
	ds_write2_b64 v67, v[72:73], v[74:75] offset1:125
	v_pk_mul_f32 v[72:73], v[192:193], v[190:191] op_sel_hi:[1,0]
	v_mov_b32_e32 v85, v71
	v_pk_fma_f32 v[74:75], v[192:193], v[50:51], v[72:73] op_sel:[0,0,1] op_sel_hi:[1,1,0] neg_lo:[0,0,1] neg_hi:[0,0,1]
	v_pk_fma_f32 v[72:73], v[192:193], v[50:51], v[72:73] op_sel:[0,0,1] op_sel_hi:[1,0,0]
	v_mad_legacy_u16 v51, v97, s9, v105
	v_mov_b32_e32 v75, v73
	v_pk_add_f32 v[72:73], v[78:79], v[74:75]
	v_pk_add_f32 v[76:77], v[78:79], v[74:75] neg_lo:[0,1] neg_hi:[0,1]
	v_pk_fma_f32 v[72:73], v[72:73], 0.5, v[68:69] op_sel_hi:[1,0,1] neg_lo:[1,0,0] neg_hi:[1,0,0]
	v_pk_mul_f32 v[76:77], v[76:77], s[12:13] op_sel_hi:[1,0]
	v_pk_add_f32 v[68:69], v[68:69], v[78:79]
	v_pk_add_f32 v[78:79], v[72:73], v[76:77] op_sel:[0,1] op_sel_hi:[1,0] neg_lo:[0,1] neg_hi:[0,1]
	v_pk_add_f32 v[72:73], v[72:73], v[76:77] op_sel:[0,1] op_sel_hi:[1,0]
	v_pk_add_f32 v[68:69], v[68:69], v[74:75]
	v_lshlrev_b32_e32 v51, 3, v51
	v_mov_b32_e32 v70, v72
	v_mov_b32_e32 v71, v79
	s_movk_i32 s13, 0x5d87
	ds_write_b64 v67, v[84:85] offset:2000
	ds_write2_b64 v51, v[68:69], v[70:71] offset1:125
	v_mul_u32_u24_sdwa v68, v100, s13 dst_sel:DWORD dst_unused:UNUSED_PAD src0_sel:WORD_0 src1_sel:DWORD
	v_sub_u16_sdwa v69, v100, v68 dst_sel:DWORD dst_unused:UNUSED_PAD src0_sel:DWORD src1_sel:WORD_1
	v_lshrrev_b16_e32 v69, 1, v69
	v_add_u16_sdwa v68, v69, v68 dst_sel:DWORD dst_unused:UNUSED_PAD src0_sel:DWORD src1_sel:WORD_1
	v_mul_u32_u24_sdwa v69, v104, s13 dst_sel:DWORD dst_unused:UNUSED_PAD src0_sel:WORD_0 src1_sel:DWORD
	v_sub_u16_sdwa v70, v104, v69 dst_sel:DWORD dst_unused:UNUSED_PAD src0_sel:DWORD src1_sel:WORD_1
	v_lshrrev_b16_e32 v70, 1, v70
	v_lshrrev_b16_e32 v97, 8, v68
	v_add_u16_sdwa v69, v70, v69 dst_sel:DWORD dst_unused:UNUSED_PAD src0_sel:DWORD src1_sel:WORD_1
	v_mul_lo_u16_e32 v68, 0x177, v97
	v_sub_u16_e32 v101, v100, v68
	v_mul_lo_u16_sdwa v68, v69, s9 dst_sel:DWORD dst_unused:UNUSED_PAD src0_sel:BYTE_1 src1_sel:DWORD
	v_sub_u16_e32 v105, v104, v68
	v_lshlrev_b16_e32 v68, 4, v105
	v_mov_b32_e32 v69, v109
	v_mov_b32_e32 v79, v73
	v_lshlrev_b16_e32 v72, 4, v101
	v_lshl_add_u64 v[68:69], s[10:11], 0, v[68:69]
	v_mov_b32_e32 v73, v109
	ds_write_b64 v51, v[78:79] offset:2000
	s_waitcnt lgkmcnt(0)
	s_barrier
	global_load_dwordx4 v[68:71], v[68:69], off offset:2960
	v_lshl_add_u64 v[72:73], s[10:11], 0, v[72:73]
	global_load_dwordx4 v[72:75], v[72:73], off offset:2960
	v_lshlrev_b32_e32 v88, 4, v116
	v_mov_b32_e32 v89, v109
	v_lshl_add_u64 v[82:83], s[10:11], 0, v[88:89]
	v_add_co_u32_e32 v76, vcc, s7, v82
	s_movk_i32 s7, 0x96
	s_nop 0
	v_addc_co_u32_e32 v77, vcc, 0, v83, vcc
	global_load_dwordx4 v[76:79], v[76:77], off offset:64
	v_lshl_add_u64 v[84:85], v[116:117], 0, s[14:15]
	v_cmp_gt_u16_e32 vcc, s7, v116
	s_movk_i32 s7, 0x95
	v_lshlrev_b32_e32 v100, 4, v100
	v_cndmask_b32_e32 v99, v85, v81, vcc
	v_cndmask_b32_e32 v98, v84, v80, vcc
	v_lshl_add_u64 v[84:85], v[98:99], 4, s[10:11]
	global_load_dwordx4 v[84:87], v[84:85], off offset:2960
	s_nop 0
	global_load_dwordx4 v[88:91], v88, s[10:11] offset:2960
	ds_read2_b64 v[92:95], v159 offset0:8 offset1:233
	ds_read2_b64 v[182:185], v155 offset0:12 offset1:237
	v_cmp_lt_u16_e32 vcc, s7, v116
	s_movk_i32 s7, 0x465
	v_lshlrev_b32_e32 v80, 4, v80
	v_mov_b32_e32 v81, v109
	v_lshlrev_b32_e32 v104, 4, v104
	s_waitcnt vmcnt(4) lgkmcnt(1)
	v_pk_mul_f32 v[102:103], v[94:95], v[68:69] op_sel:[0,1]
	s_nop 0
	v_pk_fma_f32 v[106:107], v[94:95], v[68:69], v[102:103] op_sel:[0,0,1] op_sel_hi:[1,1,0] neg_lo:[0,0,1] neg_hi:[0,0,1]
	v_pk_fma_f32 v[102:103], v[94:95], v[68:69], v[102:103] op_sel:[0,0,1] op_sel_hi:[1,0,0]
	s_waitcnt vmcnt(3)
	v_pk_mul_f32 v[94:95], v[92:93], v[72:73] op_sel:[0,1]
	v_mov_b32_e32 v188, v75
	v_pk_fma_f32 v[198:199], v[92:93], v[72:73], v[94:95] op_sel:[0,0,1] op_sel_hi:[1,1,0] neg_lo:[0,0,1] neg_hi:[0,0,1]
	v_pk_fma_f32 v[186:187], v[92:93], v[72:73], v[94:95] op_sel:[0,0,1] op_sel_hi:[1,0,0]
	s_waitcnt lgkmcnt(0)
	v_pk_mul_f32 v[92:93], v[184:185], v[188:189] op_sel_hi:[1,0]
	v_mov_b32_e32 v107, v103
	v_pk_fma_f32 v[200:201], v[184:185], v[74:75], v[92:93] op_sel:[0,0,1] op_sel_hi:[1,1,0] neg_lo:[0,0,1] neg_hi:[0,0,1]
	v_pk_fma_f32 v[184:185], v[184:185], v[74:75], v[92:93] op_sel:[0,0,1] op_sel_hi:[1,0,0]
	ds_read2_b64 v[92:95], v157 offset0:6 offset1:231
	s_waitcnt vmcnt(2)
	v_mov_b32_e32 v184, v79
	v_pk_mul_f32 v[192:193], v[182:183], v[184:185] op_sel_hi:[1,0]
	v_mov_b32_e32 v75, 0x465
	v_pk_fma_f32 v[202:203], v[182:183], v[78:79], v[192:193] op_sel:[0,0,1] op_sel_hi:[1,1,0] neg_lo:[0,0,1] neg_hi:[0,0,1]
	v_pk_fma_f32 v[182:183], v[182:183], v[78:79], v[192:193] op_sel:[0,0,1] op_sel_hi:[1,0,0]
	s_waitcnt lgkmcnt(0)
	v_pk_mul_f32 v[192:193], v[94:95], v[76:77] op_sel:[0,1]
	s_waitcnt vmcnt(1)
	v_mov_b32_e32 v186, v87
	v_pk_fma_f32 v[204:205], v[94:95], v[76:77], v[192:193] op_sel:[0,0,1] op_sel_hi:[1,1,0] neg_lo:[0,0,1] neg_hi:[0,0,1]
	v_pk_fma_f32 v[196:197], v[94:95], v[76:77], v[192:193] op_sel:[0,0,1] op_sel_hi:[1,0,0]
	ds_read2_b64 v[192:195], v151 offset0:10 offset1:235
	v_pk_mul_f32 v[94:95], v[92:93], v[84:85] op_sel:[0,1]
	s_waitcnt vmcnt(0)
	v_mov_b32_e32 v182, v91
	v_pk_fma_f32 v[206:207], v[92:93], v[84:85], v[94:95] op_sel:[0,0,1] op_sel_hi:[1,1,0] neg_lo:[0,0,1] neg_hi:[0,0,1]
	v_pk_fma_f32 v[208:209], v[92:93], v[84:85], v[94:95] op_sel:[0,0,1] op_sel_hi:[1,0,0]
	s_waitcnt lgkmcnt(0)
	v_pk_mul_f32 v[92:93], v[192:193], v[182:183] op_sel_hi:[1,0]
	v_pk_mul_f32 v[212:213], v[194:195], v[186:187] op_sel_hi:[1,0]
	v_pk_fma_f32 v[210:211], v[192:193], v[90:91], v[92:93] op_sel:[0,0,1] op_sel_hi:[1,1,0] neg_lo:[0,0,1] neg_hi:[0,0,1]
	v_pk_fma_f32 v[192:193], v[192:193], v[90:91], v[92:93] op_sel:[0,0,1] op_sel_hi:[1,0,0]
	ds_read2_b64 v[92:95], v153 offset0:4 offset1:229
	v_pk_fma_f32 v[214:215], v[194:195], v[86:87], v[212:213] op_sel:[0,0,1] op_sel_hi:[1,1,0] neg_lo:[0,0,1] neg_hi:[0,0,1]
	v_pk_fma_f32 v[194:195], v[194:195], v[86:87], v[212:213] op_sel:[0,0,1] op_sel_hi:[1,0,0]
	v_cndmask_b32_e32 v75, 0, v75, vcc
	v_mov_b32_e32 v196, v71
	s_waitcnt lgkmcnt(0)
	v_pk_mul_f32 v[212:213], v[94:95], v[88:89] op_sel:[0,1]
	v_add_lshl_u32 v75, v98, v75, 3
	v_pk_fma_f32 v[216:217], v[94:95], v[88:89], v[212:213] op_sel:[0,0,1] op_sel_hi:[1,1,0] neg_lo:[0,0,1] neg_hi:[0,0,1]
	v_pk_fma_f32 v[94:95], v[94:95], v[88:89], v[212:213] op_sel:[0,0,1] op_sel_hi:[1,0,0]
	v_mov_b32_e32 v211, v193
	v_mov_b32_e32 v217, v95
	ds_read_b64 v[94:95], v108 offset:25200
	v_mov_b32_e32 v199, v187
	v_mov_b32_e32 v201, v185
	v_pk_add_f32 v[212:213], v[198:199], v[200:201]
	v_pk_add_f32 v[218:219], v[198:199], v[200:201] neg_lo:[0,1] neg_hi:[0,1]
	s_waitcnt lgkmcnt(0)
	v_pk_mul_f32 v[98:99], v[94:95], v[196:197] op_sel_hi:[1,0]
	v_pk_mul_f32 v[218:219], v[218:219], s[12:13] op_sel_hi:[1,0]
	v_pk_fma_f32 v[102:103], v[94:95], v[70:71], v[98:99] op_sel:[0,0,1] op_sel_hi:[1,1,0] neg_lo:[0,0,1] neg_hi:[0,0,1]
	v_pk_fma_f32 v[94:95], v[94:95], v[70:71], v[98:99] op_sel:[0,0,1] op_sel_hi:[1,0,0]
	v_pk_add_f32 v[98:99], v[92:93], v[106:107]
	v_mov_b32_e32 v103, v95
	v_pk_add_f32 v[94:95], v[106:107], v[102:103]
	v_mov_b32_e32 v205, v197
	v_pk_fma_f32 v[94:95], v[94:95], 0.5, v[92:93] op_sel_hi:[1,0,1] neg_lo:[1,0,0] neg_hi:[1,0,0]
	v_pk_add_f32 v[92:93], v[106:107], v[102:103] neg_lo:[0,1] neg_hi:[0,1]
	v_mov_b32_e32 v203, v183
	v_pk_mul_f32 v[92:93], v[92:93], s[12:13] op_sel_hi:[1,0]
	v_mov_b32_e32 v215, v195
	v_pk_add_f32 v[106:107], v[94:95], v[92:93] op_sel:[0,1] op_sel_hi:[1,0] neg_lo:[0,1] neg_hi:[0,1]
	v_pk_add_f32 v[192:193], v[94:95], v[92:93] op_sel:[0,1] op_sel_hi:[1,0]
	ds_read2_b64 v[92:95], v161 offset0:2 offset1:227
	v_pk_add_f32 v[194:195], v[216:217], v[210:211]
	v_mov_b32_e32 v207, v209
	v_pk_add_f32 v[208:209], v[206:207], v[214:215]
	v_mad_legacy_u16 v71, v97, s7, v101
	s_waitcnt lgkmcnt(0)
	v_pk_fma_f32 v[212:213], v[212:213], 0.5, v[94:95] op_sel_hi:[1,0,1] neg_lo:[1,0,0] neg_hi:[1,0,0]
	v_pk_add_f32 v[222:223], v[92:93], v[204:205]
	v_pk_add_f32 v[220:221], v[212:213], v[218:219] op_sel:[0,1] op_sel_hi:[1,0] neg_lo:[0,1] neg_hi:[0,1]
	v_pk_add_f32 v[212:213], v[212:213], v[218:219] op_sel:[0,1] op_sel_hi:[1,0]
	v_pk_add_f32 v[218:219], v[204:205], v[202:203]
	v_pk_add_f32 v[198:199], v[94:95], v[198:199]
	v_pk_fma_f32 v[218:219], v[218:219], 0.5, v[92:93] op_sel_hi:[1,0,1] neg_lo:[1,0,0] neg_hi:[1,0,0]
	v_pk_add_f32 v[92:93], v[204:205], v[202:203] neg_lo:[0,1] neg_hi:[0,1]
	v_lshlrev_b32_e32 v79, 3, v71
	v_pk_mul_f32 v[92:93], v[92:93], s[12:13] op_sel_hi:[1,0]
	v_lshlrev_b32_e32 v71, 3, v105
	v_pk_add_f32 v[204:205], v[218:219], v[92:93] op_sel:[0,1] op_sel_hi:[1,0] neg_lo:[0,1] neg_hi:[0,1]
	v_pk_add_f32 v[218:219], v[218:219], v[92:93] op_sel:[0,1] op_sel_hi:[1,0]
	ds_read2_b64 v[92:95], v108 offset1:225
	s_waitcnt lgkmcnt(0)
	s_barrier
	v_add_co_u32_e32 v82, vcc, s3, v82
	v_pk_fma_f32 v[194:195], v[194:195], 0.5, v[92:93] op_sel_hi:[1,0,1] neg_lo:[1,0,0] neg_hi:[1,0,0]
	v_pk_add_f32 v[92:93], v[92:93], v[216:217]
	v_pk_fma_f32 v[208:209], v[208:209], 0.5, v[94:95] op_sel_hi:[1,0,1] neg_lo:[1,0,0] neg_hi:[1,0,0]
	v_pk_add_f32 v[92:93], v[92:93], v[210:211]
	ds_write_b64 v108, v[92:93]
	v_pk_add_f32 v[92:93], v[216:217], v[210:211] neg_lo:[0,1] neg_hi:[0,1]
	v_pk_add_f32 v[94:95], v[94:95], v[206:207]
	v_pk_mul_f32 v[92:93], v[92:93], s[12:13] op_sel_hi:[1,0]
	v_addc_co_u32_e32 v83, vcc, 0, v83, vcc
	v_pk_add_f32 v[210:211], v[194:195], v[92:93] op_sel:[0,1] op_sel_hi:[1,0] neg_lo:[0,1] neg_hi:[0,1]
	v_pk_add_f32 v[92:93], v[194:195], v[92:93] op_sel:[0,1] op_sel_hi:[1,0]
	v_mov_b32_e32 v195, v211
	v_mov_b32_e32 v194, v92
	v_mov_b32_e32 v211, v93
	v_pk_add_f32 v[92:93], v[94:95], v[214:215]
	ds_write_b64 v108, v[194:195] offset:3000
	ds_write_b64 v108, v[210:211] offset:6000
	ds_write_b64 v75, v[92:93]
	v_pk_add_f32 v[92:93], v[206:207], v[214:215] neg_lo:[0,1] neg_hi:[0,1]
	v_mov_b32_e32 v97, v109
	v_pk_mul_f32 v[92:93], v[92:93], s[12:13] op_sel_hi:[1,0]
	v_lshl_add_u64 v[96:97], s[10:11], 0, v[96:97]
	v_pk_add_f32 v[94:95], v[208:209], v[92:93] op_sel:[0,1] op_sel_hi:[1,0]
	v_pk_add_f32 v[92:93], v[208:209], v[92:93] op_sel:[0,1] op_sel_hi:[1,0] neg_lo:[0,1] neg_hi:[0,1]
	v_mov_b32_e32 v194, v94
	v_mov_b32_e32 v195, v93
	;; [unrolled: 1-line block ×3, first 2 shown]
	ds_write_b64 v75, v[92:93] offset:6000
	v_pk_add_f32 v[92:93], v[222:223], v[202:203]
	ds_write_b64 v75, v[194:195] offset:3000
	ds_write_b64 v108, v[92:93] offset:9600
	v_mov_b32_e32 v92, v218
	v_mov_b32_e32 v93, v205
	ds_write_b64 v108, v[92:93] offset:12600
	v_mov_b32_e32 v205, v219
	v_pk_add_f32 v[92:93], v[198:199], v[200:201]
	ds_write_b64 v108, v[204:205] offset:15600
	ds_write_b64 v79, v[92:93]
	v_mov_b32_e32 v92, v212
	v_mov_b32_e32 v93, v221
	ds_write_b64 v79, v[92:93] offset:3000
	v_mov_b32_e32 v221, v213
	v_pk_add_f32 v[92:93], v[98:99], v[102:103]
	ds_write_b64 v79, v[220:221] offset:6000
	ds_write_b64 v71, v[92:93] offset:18000
	v_mov_b32_e32 v92, v192
	v_mov_b32_e32 v93, v107
	;; [unrolled: 1-line block ×3, first 2 shown]
	ds_write_b64 v71, v[92:93] offset:21000
	ds_write_b64 v71, v[106:107] offset:24000
	v_lshl_add_u64 v[92:93], s[10:11], 0, v[80:81]
	s_waitcnt lgkmcnt(0)
	s_barrier
	global_load_dwordx4 v[80:83], v[82:83], off offset:768
	v_add_co_u32_e32 v92, vcc, s3, v92
	v_mov_b32_e32 v101, v109
	s_nop 0
	v_addc_co_u32_e32 v93, vcc, 0, v93, vcc
	global_load_dwordx4 v[92:95], v[92:93], off offset:768
	v_add_co_u32_e32 v96, vcc, s3, v96
	v_lshl_add_u64 v[100:101], s[10:11], 0, v[100:101]
	s_nop 0
	v_addc_co_u32_e32 v97, vcc, 0, v97, vcc
	global_load_dwordx4 v[96:99], v[96:97], off offset:768
	v_add_co_u32_e32 v100, vcc, s3, v100
	ds_read2_b64 v[198:201], v151 offset0:10 offset1:235
	s_nop 0
	v_addc_co_u32_e32 v101, vcc, 0, v101, vcc
	global_load_dwordx4 v[100:103], v[100:101], off offset:768
	ds_read2_b64 v[202:205], v157 offset0:6 offset1:231
	v_mov_b32_e32 v105, v109
	v_lshl_add_u64 v[104:105], s[10:11], 0, v[104:105]
	v_add_co_u32_e32 v104, vcc, s3, v104
	s_mov_b64 s[10:11], 0x6978
	s_nop 0
	v_addc_co_u32_e32 v105, vcc, 0, v105, vcc
	s_mov_b32 s3, 0x9000
	s_waitcnt vmcnt(3)
	v_mov_b32_e32 v192, v83
	s_waitcnt lgkmcnt(1)
	v_pk_mul_f32 v[106:107], v[198:199], v[192:193] op_sel_hi:[1,0]
	s_nop 0
	v_pk_fma_f32 v[194:195], v[198:199], v[82:83], v[106:107] op_sel:[0,0,1] op_sel_hi:[1,0,0]
	v_pk_fma_f32 v[210:211], v[198:199], v[82:83], v[106:107] op_sel:[0,0,1] op_sel_hi:[1,1,0] neg_lo:[0,0,1] neg_hi:[0,0,1]
	v_add_u32_e32 v83, 0x4d00, v108
	s_waitcnt vmcnt(2)
	v_mov_b32_e32 v194, v95
	v_pk_mul_f32 v[106:107], v[200:201], v[194:195] op_sel_hi:[1,0]
	v_mov_b32_e32 v211, v195
	v_pk_fma_f32 v[214:215], v[200:201], v[94:95], v[106:107] op_sel:[0,0,1] op_sel_hi:[1,1,0] neg_lo:[0,0,1] neg_hi:[0,0,1]
	v_pk_fma_f32 v[198:199], v[200:201], v[94:95], v[106:107] op_sel:[0,0,1] op_sel_hi:[1,0,0]
	s_waitcnt lgkmcnt(0)
	v_pk_mul_f32 v[106:107], v[202:203], v[92:93] op_sel:[0,1]
	s_waitcnt vmcnt(1)
	v_mov_b32_e32 v198, v99
	v_pk_fma_f32 v[216:217], v[202:203], v[92:93], v[106:107] op_sel:[0,0,1] op_sel_hi:[1,1,0] neg_lo:[0,0,1] neg_hi:[0,0,1]
	v_pk_fma_f32 v[208:209], v[202:203], v[92:93], v[106:107] op_sel:[0,0,1] op_sel_hi:[1,0,0]
	ds_read2_b64 v[200:203], v155 offset0:12 offset1:237
	v_pk_mul_f32 v[106:107], v[204:205], v[96:97] op_sel:[0,1]
	v_mov_b32_e32 v217, v209
	v_pk_fma_f32 v[218:219], v[204:205], v[96:97], v[106:107] op_sel:[0,0,1] op_sel_hi:[1,1,0] neg_lo:[0,0,1] neg_hi:[0,0,1]
	v_pk_fma_f32 v[220:221], v[204:205], v[96:97], v[106:107] op_sel:[0,0,1] op_sel_hi:[1,0,0]
	s_waitcnt lgkmcnt(0)
	v_pk_mul_f32 v[106:107], v[200:201], v[198:199] op_sel_hi:[1,0]
	v_mov_b32_e32 v215, v199
	v_pk_fma_f32 v[222:223], v[200:201], v[98:99], v[106:107] op_sel:[0,0,1] op_sel_hi:[1,1,0] neg_lo:[0,0,1] neg_hi:[0,0,1]
	v_pk_fma_f32 v[200:201], v[200:201], v[98:99], v[106:107] op_sel:[0,0,1] op_sel_hi:[1,0,0]
	v_mov_b32_e32 v219, v221
	s_waitcnt vmcnt(0)
	v_mov_b32_e32 v200, v103
	v_pk_mul_f32 v[106:107], v[202:203], v[200:201] op_sel_hi:[1,0]
	v_mov_b32_e32 v223, v201
	v_pk_fma_f32 v[224:225], v[202:203], v[102:103], v[106:107] op_sel:[0,0,1] op_sel_hi:[1,1,0] neg_lo:[0,0,1] neg_hi:[0,0,1]
	v_pk_fma_f32 v[226:227], v[202:203], v[102:103], v[106:107] op_sel:[0,0,1] op_sel_hi:[1,0,0]
	ds_read2_b64 v[202:205], v159 offset0:8 offset1:233
	v_mov_b32_e32 v225, v227
	s_waitcnt lgkmcnt(0)
	v_pk_mul_f32 v[106:107], v[202:203], v[100:101] op_sel:[0,1]
	s_nop 0
	v_pk_fma_f32 v[228:229], v[202:203], v[100:101], v[106:107] op_sel:[0,0,1] op_sel_hi:[1,1,0] neg_lo:[0,0,1] neg_hi:[0,0,1]
	v_pk_fma_f32 v[202:203], v[202:203], v[100:101], v[106:107] op_sel:[0,0,1] op_sel_hi:[1,0,0]
	global_load_dwordx4 v[104:107], v[104:105], off offset:768
	v_mov_b32_e32 v229, v203
	s_waitcnt vmcnt(0)
	v_pk_mul_f32 v[206:207], v[204:205], v[104:105] op_sel:[0,1]
	s_nop 0
	v_pk_fma_f32 v[230:231], v[204:205], v[104:105], v[206:207] op_sel:[0,0,1] op_sel_hi:[1,1,0] neg_lo:[0,0,1] neg_hi:[0,0,1]
	v_pk_fma_f32 v[232:233], v[204:205], v[104:105], v[206:207] op_sel:[0,0,1] op_sel_hi:[1,0,0]
	ds_read2_b64 v[204:207], v153 offset0:4 offset1:229
	v_mov_b32_e32 v231, v233
	s_waitcnt lgkmcnt(0)
	v_pk_mul_f32 v[212:213], v[206:207], v[80:81] op_sel:[0,1]
	s_nop 0
	v_pk_fma_f32 v[234:235], v[206:207], v[80:81], v[212:213] op_sel:[0,0,1] op_sel_hi:[1,1,0] neg_lo:[0,0,1] neg_hi:[0,0,1]
	v_pk_fma_f32 v[206:207], v[206:207], v[80:81], v[212:213] op_sel:[0,0,1] op_sel_hi:[1,0,0]
	s_nop 0
	v_mov_b32_e32 v235, v207
	ds_read2_b64 v[206:209], v108 offset1:225
	s_waitcnt lgkmcnt(0)
	v_pk_add_f32 v[212:213], v[206:207], v[234:235]
	s_nop 0
	v_pk_add_f32 v[236:237], v[212:213], v[210:211]
	v_pk_add_f32 v[212:213], v[234:235], v[210:211]
	v_pk_add_f32 v[210:211], v[234:235], v[210:211] neg_lo:[0,1] neg_hi:[0,1]
	v_pk_fma_f32 v[206:207], v[212:213], 0.5, v[206:207] op_sel_hi:[1,0,1] neg_lo:[1,0,0] neg_hi:[1,0,0]
	v_pk_mul_f32 v[210:211], v[210:211], s[12:13] op_sel_hi:[1,0]
	s_nop 0
	v_pk_add_f32 v[234:235], v[206:207], v[210:211] op_sel:[0,1] op_sel_hi:[1,0]
	v_pk_add_f32 v[206:207], v[206:207], v[210:211] op_sel:[0,1] op_sel_hi:[1,0] neg_lo:[0,1] neg_hi:[0,1]
	ds_read2_b64 v[210:213], v161 offset0:2 offset1:227
	v_mov_b32_e32 v239, v207
	v_mov_b32_e32 v207, v235
	ds_write_b64 v108, v[206:207] offset:18000
	v_pk_add_f32 v[206:207], v[208:209], v[216:217]
	v_mov_b32_e32 v238, v234
	v_pk_add_f32 v[206:207], v[206:207], v[214:215]
	ds_write_b64 v108, v[238:239] offset:9000
	ds_read_b64 v[234:235], v108 offset:25200
	ds_write2_b64 v108, v[236:237], v[206:207] offset1:225
	v_pk_add_f32 v[206:207], v[216:217], v[214:215]
	s_waitcnt lgkmcnt(4)
	v_pk_add_f32 v[202:203], v[212:213], v[228:229]
	v_pk_fma_f32 v[206:207], v[206:207], 0.5, v[208:209] op_sel_hi:[1,0,1] neg_lo:[1,0,0] neg_hi:[1,0,0]
	v_pk_add_f32 v[208:209], v[216:217], v[214:215] neg_lo:[0,1] neg_hi:[0,1]
	v_pk_add_f32 v[216:217], v[218:219], v[222:223] neg_lo:[0,1] neg_hi:[0,1]
	v_pk_mul_f32 v[208:209], v[208:209], s[12:13] op_sel_hi:[1,0]
	v_pk_mul_f32 v[216:217], v[216:217], s[12:13] op_sel_hi:[1,0]
	v_pk_add_f32 v[214:215], v[206:207], v[208:209] op_sel:[0,1] op_sel_hi:[1,0]
	v_pk_add_f32 v[206:207], v[206:207], v[208:209] op_sel:[0,1] op_sel_hi:[1,0] neg_lo:[0,1] neg_hi:[0,1]
	v_pk_add_f32 v[208:209], v[218:219], v[222:223]
	v_pk_add_f32 v[202:203], v[202:203], v[224:225]
	v_pk_fma_f32 v[208:209], v[208:209], 0.5, v[210:211] op_sel_hi:[1,0,1] neg_lo:[1,0,0] neg_hi:[1,0,0]
	s_nop 0
	v_pk_add_f32 v[220:221], v[208:209], v[216:217] op_sel:[0,1] op_sel_hi:[1,0]
	v_pk_add_f32 v[208:209], v[208:209], v[216:217] op_sel:[0,1] op_sel_hi:[1,0] neg_lo:[0,1] neg_hi:[0,1]
	v_mov_b32_e32 v217, v207
	v_mov_b32_e32 v237, v209
	;; [unrolled: 1-line block ×4, first 2 shown]
	ds_write2_b64 v83, v[206:207], v[208:209] offset0:11 offset1:236
	v_pk_add_f32 v[206:207], v[210:211], v[218:219]
	v_mov_b32_e32 v216, v214
	v_mov_b32_e32 v236, v220
	v_pk_add_f32 v[206:207], v[206:207], v[222:223]
	ds_write2_b64 v157, v[216:217], v[236:237] offset0:6 offset1:231
	ds_write2_b64 v161, v[206:207], v[202:203] offset0:2 offset1:227
	v_pk_add_f32 v[202:203], v[228:229], v[224:225]
	s_nop 0
	v_pk_fma_f32 v[206:207], v[202:203], 0.5, v[212:213] op_sel_hi:[1,0,1] neg_lo:[1,0,0] neg_hi:[1,0,0]
	v_mov_b32_e32 v202, v107
	s_waitcnt lgkmcnt(4)
	v_pk_mul_f32 v[208:209], v[234:235], v[202:203] op_sel_hi:[1,0]
	v_pk_add_f32 v[212:213], v[228:229], v[224:225] neg_lo:[0,1] neg_hi:[0,1]
	v_pk_fma_f32 v[210:211], v[234:235], v[106:107], v[208:209] op_sel:[0,0,1] op_sel_hi:[1,1,0] neg_lo:[0,0,1] neg_hi:[0,0,1]
	v_pk_fma_f32 v[208:209], v[234:235], v[106:107], v[208:209] op_sel:[0,0,1] op_sel_hi:[1,0,0]
	v_pk_mul_f32 v[212:213], v[212:213], s[12:13] op_sel_hi:[1,0]
	v_mov_b32_e32 v211, v209
	v_pk_add_f32 v[208:209], v[230:231], v[210:211]
	v_pk_add_f32 v[214:215], v[206:207], v[212:213] op_sel:[0,1] op_sel_hi:[1,0]
	v_pk_fma_f32 v[208:209], v[208:209], 0.5, v[204:205] op_sel_hi:[1,0,1] neg_lo:[1,0,0] neg_hi:[1,0,0]
	v_pk_add_f32 v[204:205], v[204:205], v[230:231]
	v_pk_add_f32 v[206:207], v[206:207], v[212:213] op_sel:[0,1] op_sel_hi:[1,0] neg_lo:[0,1] neg_hi:[0,1]
	v_pk_add_f32 v[204:205], v[204:205], v[210:211]
	ds_write_b64 v108, v[204:205] offset:7200
	v_pk_add_f32 v[204:205], v[230:231], v[210:211] neg_lo:[0,1] neg_hi:[0,1]
	v_mov_b32_e32 v213, v207
	v_mov_b32_e32 v207, v215
	v_pk_mul_f32 v[204:205], v[204:205], s[12:13] op_sel_hi:[1,0]
	ds_write_b64 v108, v[206:207] offset:23400
	v_pk_add_f32 v[206:207], v[208:209], v[204:205] op_sel:[0,1] op_sel_hi:[1,0]
	v_pk_add_f32 v[204:205], v[208:209], v[204:205] op_sel:[0,1] op_sel_hi:[1,0] neg_lo:[0,1] neg_hi:[0,1]
	v_mov_b32_e32 v212, v214
	v_mov_b32_e32 v208, v206
	;; [unrolled: 1-line block ×4, first 2 shown]
	ds_write2_b64 v159, v[212:213], v[208:209] offset0:8 offset1:233
	ds_write_b64 v108, v[204:205] offset:25200
	s_waitcnt lgkmcnt(0)
	s_barrier
	global_load_dwordx2 v[164:165], v[164:165], off offset:2424
	v_lshl_add_u64 v[208:209], v[146:147], 0, s[10:11]
	global_load_dwordx2 v[210:211], v[208:209], off offset:1800
	v_add_co_u32_e32 v204, vcc, s3, v146
	s_mov_b32 s3, 0xb000
	s_nop 0
	v_addc_co_u32_e32 v205, vcc, 0, v147, vcc
	global_load_dwordx2 v[212:213], v[204:205], off offset:936
	global_load_dwordx2 v[214:215], v[204:205], off offset:2736
	v_add_co_u32_e32 v216, vcc, s3, v146
	ds_read2_b64 v[204:207], v108 offset1:225
	s_nop 0
	v_addc_co_u32_e32 v217, vcc, 0, v147, vcc
	global_load_dwordx2 v[218:219], v[216:217], off offset:3544
	s_mov_b32 s3, 0xa000
	global_load_dwordx2 v[208:209], v[208:209], off offset:3600
	s_waitcnt vmcnt(5) lgkmcnt(0)
	v_mul_f32_e32 v87, v205, v165
	v_mul_f32_e32 v221, v204, v165
	v_fma_f32 v220, v204, v164, -v87
	v_fmac_f32_e32 v221, v205, v164
	s_waitcnt vmcnt(4)
	v_mul_f32_e32 v87, v207, v211
	v_mul_f32_e32 v165, v206, v211
	ds_write_b64 v108, v[220:221]
	v_fma_f32 v164, v206, v210, -v87
	v_fmac_f32_e32 v165, v207, v210
	ds_read2_b64 v[204:207], v157 offset0:6 offset1:231
	v_add_co_u32_e32 v210, vcc, s3, v146
	s_mov_b32 s3, 0x8000
	s_nop 0
	v_addc_co_u32_e32 v211, vcc, 0, v147, vcc
	global_load_dwordx2 v[220:221], v[210:211], off offset:440
	s_waitcnt vmcnt(4) lgkmcnt(0)
	v_mul_f32_e32 v87, v205, v213
	v_fma_f32 v222, v204, v212, -v87
	v_mul_f32_e32 v223, v204, v213
	s_waitcnt vmcnt(3)
	v_mul_f32_e32 v87, v207, v215
	v_mul_f32_e32 v213, v206, v215
	v_fmac_f32_e32 v223, v205, v212
	v_fma_f32 v212, v206, v214, -v87
	v_fmac_f32_e32 v213, v207, v214
	v_add_co_u32_e32 v214, vcc, s3, v146
	s_mov_b32 s3, 0xc000
	s_nop 0
	v_addc_co_u32_e32 v215, vcc, 0, v147, vcc
	global_load_dwordx2 v[224:225], v[214:215], off offset:1432
	s_nop 0
	global_load_dwordx2 v[216:217], v[216:217], off offset:1744
	ds_read2_b64 v[204:207], v155 offset0:12 offset1:237
	s_waitcnt vmcnt(4) lgkmcnt(0)
	v_mul_f32_e32 v87, v205, v219
	v_fma_f32 v226, v204, v218, -v87
	v_mul_f32_e32 v227, v204, v219
	v_add_co_u32_e32 v204, vcc, s3, v146
	v_fmac_f32_e32 v227, v205, v218
	s_nop 0
	v_addc_co_u32_e32 v205, vcc, 0, v147, vcc
	global_load_dwordx2 v[218:219], v[204:205], off offset:1248
	global_load_dwordx2 v[228:229], v[204:205], off offset:3048
	s_nop 0
	global_load_dwordx2 v[214:215], v[214:215], off offset:3232
	s_movk_i32 s3, 0x7000
	v_add_co_u32_e32 v146, vcc, s3, v146
	s_waitcnt vmcnt(2)
	v_mul_f32_e32 v87, v207, v219
	v_addc_co_u32_e32 v147, vcc, 0, v147, vcc
	global_load_dwordx2 v[146:147], v[146:147], off offset:3728
	v_mul_f32_e32 v231, v206, v219
	v_fma_f32 v230, v206, v218, -v87
	v_fmac_f32_e32 v231, v207, v218
	ds_read2_b64 v[204:207], v161 offset0:2 offset1:227
	s_waitcnt vmcnt(0) lgkmcnt(0)
	v_mul_f32_e32 v87, v207, v147
	v_fma_f32 v218, v206, v146, -v87
	v_mul_f32_e32 v219, v206, v147
	v_mul_f32_e32 v87, v205, v209
	v_mul_f32_e32 v147, v204, v209
	v_fmac_f32_e32 v219, v207, v146
	v_fma_f32 v146, v204, v208, -v87
	v_fmac_f32_e32 v147, v205, v208
	ds_read2_b64 v[204:207], v153 offset0:4 offset1:229
	s_waitcnt lgkmcnt(0)
	v_mul_f32_e32 v87, v205, v225
	v_fma_f32 v208, v204, v224, -v87
	v_mul_f32_e32 v209, v204, v225
	v_mul_f32_e32 v87, v207, v215
	;; [unrolled: 1-line block ×3, first 2 shown]
	v_fmac_f32_e32 v209, v205, v224
	v_fma_f32 v224, v206, v214, -v87
	v_fmac_f32_e32 v225, v207, v214
	global_load_dwordx2 v[214:215], v[210:211], off offset:2240
	ds_read2_b64 v[204:207], v159 offset0:8 offset1:233
	global_load_dwordx2 v[210:211], v[210:211], off offset:4040
	s_waitcnt vmcnt(1) lgkmcnt(0)
	v_mul_f32_e32 v87, v207, v215
	v_fma_f32 v232, v206, v214, -v87
	v_mul_f32_e32 v233, v206, v215
	v_mul_f32_e32 v87, v205, v221
	;; [unrolled: 1-line block ×3, first 2 shown]
	v_fmac_f32_e32 v233, v207, v214
	v_fma_f32 v214, v204, v220, -v87
	v_fmac_f32_e32 v215, v205, v220
	ds_read2_b64 v[204:207], v151 offset0:10 offset1:235
	s_waitcnt vmcnt(0) lgkmcnt(0)
	v_mul_f32_e32 v87, v205, v211
	v_mul_f32_e32 v221, v204, v211
	v_fma_f32 v220, v204, v210, -v87
	v_fmac_f32_e32 v221, v205, v210
	v_mul_f32_e32 v87, v207, v217
	v_mul_f32_e32 v205, v206, v217
	v_fma_f32 v204, v206, v216, -v87
	v_fmac_f32_e32 v205, v207, v216
	ds_read_b64 v[206:207], v108 offset:25200
	v_add_u32_e32 v87, 0x1500, v108
	ds_write2_b64 v87, v[218:219], v[208:209] offset0:3 offset1:228
	v_add_u32_e32 v87, 0x3f00, v108
	ds_write2_b64 v87, v[232:233], v[220:221] offset0:9 offset1:234
	;; [unrolled: 2-line block ×4, first 2 shown]
	ds_write2_b64 v169, v[212:213], v[214:215] offset0:7 offset1:232
	s_waitcnt lgkmcnt(5)
	v_mul_f32_e32 v87, v207, v229
	v_mul_f32_e32 v147, v206, v229
	v_fma_f32 v146, v206, v228, -v87
	v_fmac_f32_e32 v147, v207, v228
	ds_write2_b64 v171, v[230:231], v[146:147] offset0:13 offset1:238
	ds_write2_b64 v83, v[204:205], v[226:227] offset0:11 offset1:236
	s_waitcnt lgkmcnt(0)
	s_barrier
	ds_read2_b64 v[204:207], v157 offset0:6 offset1:231
	ds_read2_b64 v[208:211], v161 offset0:2 offset1:227
	;; [unrolled: 1-line block ×4, first 2 shown]
	ds_read2_b64 v[220:223], v108 offset1:225
	s_waitcnt lgkmcnt(3)
	v_pk_add_f32 v[146:147], v[210:211], v[204:205] neg_lo:[0,1] neg_hi:[0,1]
	s_waitcnt lgkmcnt(2)
	v_pk_add_f32 v[232:233], v[210:211], v[212:213] neg_lo:[0,1] neg_hi:[0,1]
	s_waitcnt lgkmcnt(1)
	v_pk_add_f32 v[164:165], v[212:213], v[218:219] neg_lo:[0,1] neg_hi:[0,1]
	v_pk_mul_f32 v[224:225], v[232:233], s[2:3] op_sel_hi:[1,0]
	v_pk_add_f32 v[146:147], v[146:147], v[164:165]
	v_pk_add_f32 v[164:165], v[204:205], v[218:219]
	v_pk_add_f32 v[234:235], v[204:205], v[218:219] neg_lo:[0,1] neg_hi:[0,1]
	s_waitcnt lgkmcnt(0)
	v_pk_fma_f32 v[164:165], v[164:165], 0.5, v[220:221] op_sel_hi:[1,0,1] neg_lo:[1,0,0] neg_hi:[1,0,0]
	s_nop 0
	v_pk_add_f32 v[226:227], v[164:165], v[224:225] op_sel:[0,1] op_sel_hi:[1,0] neg_lo:[0,1] neg_hi:[0,1]
	v_pk_add_f32 v[164:165], v[164:165], v[224:225] op_sel:[0,1] op_sel_hi:[1,0]
	v_pk_mul_f32 v[224:225], v[234:235], s[8:9] op_sel_hi:[1,0]
	s_nop 0
	v_pk_add_f32 v[164:165], v[164:165], v[224:225] op_sel:[0,1] op_sel_hi:[1,0]
	v_pk_add_f32 v[236:237], v[226:227], v[224:225] op_sel:[0,1] op_sel_hi:[1,0] neg_lo:[0,1] neg_hi:[0,1]
	v_pk_add_f32 v[224:225], v[220:221], v[210:211]
	v_mov_b32_e32 v242, v236
	v_pk_add_f32 v[224:225], v[224:225], v[204:205]
	v_pk_add_f32 v[204:205], v[204:205], v[210:211] neg_lo:[0,1] neg_hi:[0,1]
	v_pk_add_f32 v[224:225], v[224:225], v[218:219]
	v_pk_add_f32 v[210:211], v[210:211], v[212:213]
	v_pk_add_f32 v[238:239], v[224:225], v[212:213]
	ds_read_b64 v[240:241], v108 offset:25200
	ds_read2_b64 v[224:227], v153 offset0:4 offset1:229
	ds_read2_b64 v[228:231], v151 offset0:10 offset1:235
	v_pk_add_f32 v[218:219], v[218:219], v[212:213] neg_lo:[0,1] neg_hi:[0,1]
	v_pk_fma_f32 v[210:211], v[210:211], 0.5, v[220:221] op_sel_hi:[1,0,1] neg_lo:[1,0,0] neg_hi:[1,0,0]
	v_pk_mul_f32 v[212:213], v[234:235], s[2:3] op_sel_hi:[1,0]
	v_pk_add_f32 v[204:205], v[204:205], v[218:219]
	v_pk_add_f32 v[218:219], v[210:211], v[212:213] op_sel:[0,1] op_sel_hi:[1,0]
	v_pk_add_f32 v[210:211], v[210:211], v[212:213] op_sel:[0,1] op_sel_hi:[1,0] neg_lo:[0,1] neg_hi:[0,1]
	v_pk_mul_f32 v[212:213], v[232:233], s[8:9] op_sel_hi:[1,0]
	v_mov_b32_e32 v243, v165
	v_pk_add_f32 v[210:211], v[210:211], v[212:213] op_sel:[0,1] op_sel_hi:[1,0]
	v_pk_add_f32 v[212:213], v[218:219], v[212:213] op_sel:[0,1] op_sel_hi:[1,0] neg_lo:[0,1] neg_hi:[0,1]
	v_mov_b32_e32 v219, v211
	v_mov_b32_e32 v218, v212
	;; [unrolled: 1-line block ×3, first 2 shown]
	v_pk_fma_f32 v[212:213], v[204:205], s[6:7], v[218:219] op_sel_hi:[1,0,1]
	v_pk_fma_f32 v[204:205], v[204:205], s[6:7], v[210:211] op_sel_hi:[1,0,1]
	v_mov_b32_e32 v165, v237
	s_waitcnt lgkmcnt(0)
	s_barrier
	v_pk_fma_f32 v[242:243], v[146:147], s[6:7], v[242:243] op_sel_hi:[1,0,1]
	ds_write2_b64 v111, v[212:213], v[204:205] offset0:2 offset1:3
	v_pk_fma_f32 v[146:147], v[146:147], s[6:7], v[164:165] op_sel_hi:[1,0,1]
	v_pk_add_f32 v[210:211], v[224:225], v[206:207] neg_lo:[0,1] neg_hi:[0,1]
	v_pk_add_f32 v[212:213], v[214:215], v[228:229] neg_lo:[0,1] neg_hi:[0,1]
	ds_write_b64 v111, v[146:147] offset:32
	v_pk_add_f32 v[146:147], v[206:207], v[228:229]
	v_pk_add_f32 v[210:211], v[210:211], v[212:213]
	v_pk_add_f32 v[212:213], v[224:225], v[214:215] neg_lo:[0,1] neg_hi:[0,1]
	v_pk_fma_f32 v[146:147], v[146:147], 0.5, v[222:223] op_sel_hi:[1,0,1] neg_lo:[1,0,0] neg_hi:[1,0,0]
	v_pk_mul_f32 v[218:219], v[212:213], s[2:3] op_sel_hi:[1,0]
	v_pk_add_f32 v[164:165], v[224:225], v[214:215]
	v_pk_add_f32 v[220:221], v[146:147], v[218:219] op_sel:[0,1] op_sel_hi:[1,0] neg_lo:[0,1] neg_hi:[0,1]
	v_pk_add_f32 v[146:147], v[146:147], v[218:219] op_sel:[0,1] op_sel_hi:[1,0]
	v_pk_add_f32 v[218:219], v[206:207], v[228:229] neg_lo:[0,1] neg_hi:[0,1]
	v_pk_fma_f32 v[164:165], v[164:165], 0.5, v[222:223] op_sel_hi:[1,0,1] neg_lo:[1,0,0] neg_hi:[1,0,0]
	v_pk_add_f32 v[204:205], v[222:223], v[224:225]
	v_pk_mul_f32 v[222:223], v[218:219], s[8:9] op_sel_hi:[1,0]
	v_pk_add_f32 v[204:205], v[204:205], v[206:207]
	v_pk_add_f32 v[146:147], v[146:147], v[222:223] op_sel:[0,1] op_sel_hi:[1,0]
	v_pk_add_f32 v[220:221], v[220:221], v[222:223] op_sel:[0,1] op_sel_hi:[1,0] neg_lo:[0,1] neg_hi:[0,1]
	v_pk_add_f32 v[204:205], v[204:205], v[228:229]
	v_mov_b32_e32 v222, v220
	v_mov_b32_e32 v223, v147
	v_pk_add_f32 v[204:205], v[204:205], v[214:215]
	v_pk_fma_f32 v[222:223], v[210:211], s[6:7], v[222:223] op_sel_hi:[1,0,1]
	ds_write2_b64 v111, v[238:239], v[242:243] offset1:1
	ds_write2_b64 v167, v[204:205], v[222:223] offset1:1
	v_pk_add_f32 v[204:205], v[206:207], v[224:225] neg_lo:[0,1] neg_hi:[0,1]
	v_pk_add_f32 v[206:207], v[228:229], v[214:215] neg_lo:[0,1] neg_hi:[0,1]
	v_mov_b32_e32 v147, v221
	v_pk_add_f32 v[204:205], v[204:205], v[206:207]
	v_pk_mul_f32 v[206:207], v[218:219], s[2:3] op_sel_hi:[1,0]
	v_pk_fma_f32 v[146:147], v[210:211], s[6:7], v[146:147] op_sel_hi:[1,0,1]
	v_pk_add_f32 v[214:215], v[164:165], v[206:207] op_sel:[0,1] op_sel_hi:[1,0]
	v_pk_add_f32 v[164:165], v[164:165], v[206:207] op_sel:[0,1] op_sel_hi:[1,0] neg_lo:[0,1] neg_hi:[0,1]
	v_pk_mul_f32 v[206:207], v[212:213], s[8:9] op_sel_hi:[1,0]
	ds_write_b64 v167, v[146:147] offset:32
	v_pk_add_f32 v[164:165], v[164:165], v[206:207] op_sel:[0,1] op_sel_hi:[1,0]
	v_pk_add_f32 v[206:207], v[214:215], v[206:207] op_sel:[0,1] op_sel_hi:[1,0] neg_lo:[0,1] neg_hi:[0,1]
	v_mov_b32_e32 v213, v165
	v_mov_b32_e32 v212, v206
	;; [unrolled: 1-line block ×3, first 2 shown]
	v_pk_fma_f32 v[206:207], v[204:205], s[6:7], v[212:213] op_sel_hi:[1,0,1]
	v_pk_fma_f32 v[164:165], v[204:205], s[6:7], v[164:165] op_sel_hi:[1,0,1]
	ds_write2_b64 v167, v[206:207], v[164:165] offset0:2 offset1:3
	v_pk_add_f32 v[146:147], v[226:227], v[216:217] neg_lo:[0,1] neg_hi:[0,1]
	v_pk_add_f32 v[164:165], v[240:241], v[230:231] neg_lo:[0,1] neg_hi:[0,1]
	;; [unrolled: 1-line block ×3, first 2 shown]
	v_pk_add_f32 v[146:147], v[146:147], v[164:165]
	v_pk_add_f32 v[164:165], v[216:217], v[230:231]
	v_pk_mul_f32 v[206:207], v[204:205], s[2:3] op_sel_hi:[1,0]
	v_pk_fma_f32 v[164:165], v[164:165], 0.5, v[208:209] op_sel_hi:[1,0,1] neg_lo:[1,0,0] neg_hi:[1,0,0]
	v_pk_mul_f32 v[204:205], v[204:205], s[8:9] op_sel_hi:[1,0]
	v_pk_add_f32 v[210:211], v[164:165], v[206:207] op_sel:[0,1] op_sel_hi:[1,0] neg_lo:[0,1] neg_hi:[0,1]
	v_pk_add_f32 v[164:165], v[164:165], v[206:207] op_sel:[0,1] op_sel_hi:[1,0]
	v_pk_add_f32 v[206:207], v[216:217], v[230:231] neg_lo:[0,1] neg_hi:[0,1]
	v_mov_b32_e32 v111, v126
	v_pk_mul_f32 v[212:213], v[206:207], s[8:9] op_sel_hi:[1,0]
	v_pk_mul_f32 v[206:207], v[206:207], s[2:3] op_sel_hi:[1,0]
	v_pk_add_f32 v[164:165], v[164:165], v[212:213] op_sel:[0,1] op_sel_hi:[1,0]
	v_pk_add_f32 v[210:211], v[210:211], v[212:213] op_sel:[0,1] op_sel_hi:[1,0] neg_lo:[0,1] neg_hi:[0,1]
	v_pk_add_f32 v[212:213], v[208:209], v[226:227]
	v_mov_b32_e32 v214, v210
	v_pk_add_f32 v[212:213], v[212:213], v[216:217]
	v_mov_b32_e32 v215, v165
	v_pk_add_f32 v[212:213], v[212:213], v[230:231]
	v_pk_fma_f32 v[214:215], v[146:147], s[6:7], v[214:215] op_sel_hi:[1,0,1]
	v_pk_add_f32 v[212:213], v[212:213], v[240:241]
	ds_write2_b64 v163, v[212:213], v[214:215] offset1:1
	v_pk_add_f32 v[214:215], v[226:227], v[240:241]
	v_pk_add_f32 v[212:213], v[216:217], v[226:227] neg_lo:[0,1] neg_hi:[0,1]
	v_pk_fma_f32 v[208:209], v[214:215], 0.5, v[208:209] op_sel_hi:[1,0,1] neg_lo:[1,0,0] neg_hi:[1,0,0]
	v_pk_add_f32 v[214:215], v[230:231], v[240:241] neg_lo:[0,1] neg_hi:[0,1]
	v_mov_b32_e32 v165, v211
	v_pk_add_f32 v[212:213], v[212:213], v[214:215]
	v_pk_add_f32 v[214:215], v[208:209], v[206:207] op_sel:[0,1] op_sel_hi:[1,0]
	v_pk_add_f32 v[206:207], v[208:209], v[206:207] op_sel:[0,1] op_sel_hi:[1,0] neg_lo:[0,1] neg_hi:[0,1]
	v_pk_fma_f32 v[146:147], v[146:147], s[6:7], v[164:165] op_sel_hi:[1,0,1]
	v_pk_add_f32 v[206:207], v[206:207], v[204:205] op_sel:[0,1] op_sel_hi:[1,0]
	v_pk_add_f32 v[204:205], v[214:215], v[204:205] op_sel:[0,1] op_sel_hi:[1,0] neg_lo:[0,1] neg_hi:[0,1]
	v_mov_b32_e32 v209, v207
	v_mov_b32_e32 v208, v204
	;; [unrolled: 1-line block ×3, first 2 shown]
	v_pk_fma_f32 v[204:205], v[212:213], s[6:7], v[208:209] op_sel_hi:[1,0,1]
	v_pk_fma_f32 v[206:207], v[212:213], s[6:7], v[206:207] op_sel_hi:[1,0,1]
	ds_write2_b64 v163, v[204:205], v[206:207] offset0:2 offset1:3
	ds_write_b64 v163, v[146:147] offset:32
	s_waitcnt lgkmcnt(0)
	s_barrier
	ds_read_b64 v[164:165], v108 offset:25200
	ds_read2_b64 v[204:207], v151 offset0:10 offset1:235
	ds_read2_b64 v[208:211], v155 offset0:12 offset1:237
	s_waitcnt lgkmcnt(2)
	v_pk_mul_f32 v[170:171], v[170:171], v[164:165] op_sel_hi:[0,1]
	v_pk_fma_f32 v[146:147], v[22:23], v[164:165], v[170:171] op_sel:[0,0,1] op_sel_hi:[1,1,0]
	v_pk_fma_f32 v[164:165], v[22:23], v[164:165], v[170:171] op_sel:[0,0,1] op_sel_hi:[0,1,0] neg_lo:[0,0,1] neg_hi:[0,0,1]
	s_waitcnt lgkmcnt(1)
	v_pk_mul_f32 v[170:171], v[20:21], v[206:207] op_sel:[1,0]
	v_mov_b32_e32 v147, v165
	v_pk_fma_f32 v[22:23], v[20:21], v[206:207], v[170:171] op_sel:[0,0,1] op_sel_hi:[1,1,0]
	v_pk_fma_f32 v[20:21], v[20:21], v[206:207], v[170:171] op_sel:[0,0,1] op_sel_hi:[0,1,0] neg_lo:[0,0,1] neg_hi:[0,0,1]
	v_pk_mul_f32 v[170:171], v[12:13], v[204:205] op_sel:[1,0]
	v_mov_b32_e32 v23, v21
	v_pk_fma_f32 v[212:213], v[12:13], v[204:205], v[170:171] op_sel:[0,0,1] op_sel_hi:[1,1,0]
	v_pk_fma_f32 v[170:171], v[12:13], v[204:205], v[170:171] op_sel:[0,0,1] op_sel_hi:[0,1,0] neg_lo:[0,0,1] neg_hi:[0,0,1]
	s_waitcnt lgkmcnt(0)
	v_pk_mul_f32 v[12:13], v[156:157], v[210:211] op_sel_hi:[0,1]
	v_pk_fma_f32 v[214:215], v[14:15], v[210:211], v[12:13] op_sel:[0,0,1] op_sel_hi:[1,1,0]
	ds_read2_b64 v[204:207], v159 offset0:8 offset1:233
	v_pk_fma_f32 v[210:211], v[14:15], v[210:211], v[12:13] op_sel:[0,0,1] op_sel_hi:[0,1,0] neg_lo:[0,0,1] neg_hi:[0,0,1]
	v_pk_mul_f32 v[12:13], v[154:155], v[208:209] op_sel_hi:[0,1]
	v_pk_fma_f32 v[216:217], v[30:31], v[208:209], v[12:13] op_sel:[0,0,1] op_sel_hi:[1,1,0]
	v_pk_fma_f32 v[208:209], v[30:31], v[208:209], v[12:13] op_sel:[0,0,1] op_sel_hi:[0,1,0] neg_lo:[0,0,1] neg_hi:[0,0,1]
	ds_read2_b64 v[12:15], v153 offset0:4 offset1:229
	s_waitcnt lgkmcnt(1)
	v_pk_mul_f32 v[30:31], v[28:29], v[206:207] op_sel:[1,0]
	v_mov_b32_e32 v217, v209
	v_pk_fma_f32 v[218:219], v[28:29], v[206:207], v[30:31] op_sel:[0,0,1] op_sel_hi:[1,1,0]
	v_pk_fma_f32 v[206:207], v[28:29], v[206:207], v[30:31] op_sel:[0,0,1] op_sel_hi:[0,1,0] neg_lo:[0,0,1] neg_hi:[0,0,1]
	v_pk_mul_f32 v[28:29], v[152:153], v[204:205] op_sel_hi:[0,1]
	s_waitcnt lgkmcnt(0)
	v_pk_mul_f32 v[222:223], v[4:5], v[14:15] op_sel:[1,0]
	v_pk_fma_f32 v[220:221], v[6:7], v[204:205], v[28:29] op_sel:[0,0,1] op_sel_hi:[1,1,0]
	v_pk_fma_f32 v[204:205], v[6:7], v[204:205], v[28:29] op_sel:[0,0,1] op_sel_hi:[0,1,0] neg_lo:[0,0,1] neg_hi:[0,0,1]
	v_pk_fma_f32 v[224:225], v[4:5], v[14:15], v[222:223] op_sel:[0,0,1] op_sel_hi:[1,1,0]
	ds_read2_b64 v[28:31], v157 offset0:6 offset1:231
	v_pk_fma_f32 v[4:5], v[4:5], v[14:15], v[222:223] op_sel:[0,0,1] op_sel_hi:[0,1,0] neg_lo:[0,0,1] neg_hi:[0,0,1]
	v_pk_mul_f32 v[14:15], v[0:1], v[12:13] op_sel:[1,0]
	v_mov_b32_e32 v219, v207
	v_pk_fma_f32 v[222:223], v[0:1], v[12:13], v[14:15] op_sel:[0,0,1] op_sel_hi:[1,1,0]
	v_pk_fma_f32 v[226:227], v[0:1], v[12:13], v[14:15] op_sel:[0,0,1] op_sel_hi:[0,1,0] neg_lo:[0,0,1] neg_hi:[0,0,1]
	ds_read2_b64 v[12:15], v161 offset0:2 offset1:227
	s_waitcnt lgkmcnt(1)
	v_pk_mul_f32 v[0:1], v[150:151], v[30:31] op_sel_hi:[0,1]
	v_pk_fma_f32 v[228:229], v[2:3], v[30:31], v[0:1] op_sel:[0,0,1] op_sel_hi:[1,1,0]
	v_pk_fma_f32 v[30:31], v[2:3], v[30:31], v[0:1] op_sel:[0,0,1] op_sel_hi:[0,1,0] neg_lo:[0,0,1] neg_hi:[0,0,1]
	v_pk_mul_f32 v[0:1], v[148:149], v[28:29] op_sel_hi:[0,1]
	s_waitcnt lgkmcnt(0)
	v_pk_mul_f32 v[2:3], v[8:9], v[14:15] op_sel:[1,0]
	v_pk_fma_f32 v[230:231], v[10:11], v[28:29], v[0:1] op_sel:[0,0,1] op_sel_hi:[1,1,0]
	v_pk_fma_f32 v[0:1], v[10:11], v[28:29], v[0:1] op_sel:[0,0,1] op_sel_hi:[0,1,0] neg_lo:[0,0,1] neg_hi:[0,0,1]
	v_pk_fma_f32 v[10:11], v[8:9], v[14:15], v[2:3] op_sel:[0,0,1] op_sel_hi:[1,1,0]
	v_pk_fma_f32 v[2:3], v[8:9], v[14:15], v[2:3] op_sel:[0,0,1] op_sel_hi:[0,1,0] neg_lo:[0,0,1] neg_hi:[0,0,1]
	v_mov_b32_e32 v11, v3
	v_mov_b32_e32 v231, v1
	ds_read2_b64 v[0:3], v108 offset1:225
	v_pk_add_f32 v[8:9], v[10:11], v[230:231] neg_lo:[0,1] neg_hi:[0,1]
	v_pk_add_f32 v[14:15], v[216:217], v[218:219] neg_lo:[0,1] neg_hi:[0,1]
	v_pk_add_f32 v[28:29], v[10:11], v[216:217] neg_lo:[0,1] neg_hi:[0,1]
	v_pk_add_f32 v[8:9], v[8:9], v[14:15]
	v_pk_add_f32 v[14:15], v[230:231], v[218:219]
	v_pk_mul_f32 v[206:207], v[28:29], s[2:3] op_sel_hi:[1,0]
	s_waitcnt lgkmcnt(0)
	v_pk_fma_f32 v[14:15], v[14:15], 0.5, v[0:1] op_sel_hi:[1,0,1] neg_lo:[1,0,0] neg_hi:[1,0,0]
	s_nop 0
	v_pk_add_f32 v[208:209], v[14:15], v[206:207] op_sel:[0,1] op_sel_hi:[1,0] neg_lo:[0,1] neg_hi:[0,1]
	v_pk_add_f32 v[14:15], v[14:15], v[206:207] op_sel:[0,1] op_sel_hi:[1,0]
	v_pk_add_f32 v[206:207], v[230:231], v[218:219] neg_lo:[0,1] neg_hi:[0,1]
	s_barrier
	v_pk_mul_f32 v[232:233], v[206:207], s[8:9] op_sel_hi:[1,0]
	s_nop 0
	v_pk_add_f32 v[14:15], v[14:15], v[232:233] op_sel:[0,1] op_sel_hi:[1,0]
	v_pk_add_f32 v[208:209], v[208:209], v[232:233] op_sel:[0,1] op_sel_hi:[1,0] neg_lo:[0,1] neg_hi:[0,1]
	v_pk_add_f32 v[232:233], v[0:1], v[10:11]
	v_mov_b32_e32 v234, v208
	v_pk_add_f32 v[232:233], v[232:233], v[230:231]
	v_pk_add_f32 v[230:231], v[230:231], v[10:11] neg_lo:[0,1] neg_hi:[0,1]
	v_pk_add_f32 v[10:11], v[10:11], v[216:217]
	v_pk_add_f32 v[232:233], v[232:233], v[218:219]
	v_pk_fma_f32 v[0:1], v[10:11], 0.5, v[0:1] op_sel_hi:[1,0,1] neg_lo:[1,0,0] neg_hi:[1,0,0]
	v_pk_mul_f32 v[10:11], v[206:207], s[2:3] op_sel_hi:[1,0]
	v_pk_add_f32 v[232:233], v[232:233], v[216:217]
	v_pk_add_f32 v[206:207], v[0:1], v[10:11] op_sel:[0,1] op_sel_hi:[1,0]
	v_pk_add_f32 v[0:1], v[0:1], v[10:11] op_sel:[0,1] op_sel_hi:[1,0] neg_lo:[0,1] neg_hi:[0,1]
	v_pk_mul_f32 v[10:11], v[28:29], s[8:9] op_sel_hi:[1,0]
	v_pk_add_f32 v[216:217], v[218:219], v[216:217] neg_lo:[0,1] neg_hi:[0,1]
	v_pk_add_f32 v[0:1], v[0:1], v[10:11] op_sel:[0,1] op_sel_hi:[1,0]
	v_pk_add_f32 v[10:11], v[206:207], v[10:11] op_sel:[0,1] op_sel_hi:[1,0] neg_lo:[0,1] neg_hi:[0,1]
	v_pk_add_f32 v[216:217], v[230:231], v[216:217]
	v_mov_b32_e32 v28, v10
	v_mov_b32_e32 v29, v1
	;; [unrolled: 1-line block ×4, first 2 shown]
	v_pk_fma_f32 v[10:11], v[216:217], s[6:7], v[28:29] op_sel_hi:[1,0,1]
	v_pk_fma_f32 v[0:1], v[216:217], s[6:7], v[0:1] op_sel_hi:[1,0,1]
	v_mov_b32_e32 v15, v209
	v_pk_fma_f32 v[234:235], v[8:9], s[6:7], v[234:235] op_sel_hi:[1,0,1]
	ds_write2_b64 v7, v[10:11], v[0:1] offset0:10 offset1:15
	v_pk_fma_f32 v[0:1], v[8:9], s[6:7], v[14:15] op_sel_hi:[1,0,1]
	v_mov_b32_e32 v223, v227
	v_mov_b32_e32 v229, v31
	;; [unrolled: 1-line block ×4, first 2 shown]
	ds_write2_b64 v7, v[232:233], v[234:235] offset1:5
	ds_write_b64 v7, v[0:1] offset:160
	v_pk_add_f32 v[0:1], v[222:223], v[228:229] neg_lo:[0,1] neg_hi:[0,1]
	v_pk_add_f32 v[6:7], v[214:215], v[212:213] neg_lo:[0,1] neg_hi:[0,1]
	;; [unrolled: 1-line block ×3, first 2 shown]
	v_pk_add_f32 v[0:1], v[0:1], v[6:7]
	v_pk_add_f32 v[6:7], v[228:229], v[212:213]
	v_pk_add_f32 v[14:15], v[228:229], v[212:213] neg_lo:[0,1] neg_hi:[0,1]
	v_pk_fma_f32 v[6:7], v[6:7], 0.5, v[2:3] op_sel_hi:[1,0,1] neg_lo:[1,0,0] neg_hi:[1,0,0]
	v_pk_add_f32 v[28:29], v[2:3], v[222:223]
	v_pk_fma_f32 v[10:11], v[8:9], s[2:3], v[6:7] op_sel:[1,0,0] op_sel_hi:[0,0,1]
	v_pk_fma_f32 v[6:7], v[8:9], s[2:3], v[6:7] op_sel:[1,0,0] op_sel_hi:[0,0,1] neg_lo:[1,0,0] neg_hi:[1,0,0]
	v_pk_fma_f32 v[6:7], v[14:15], s[8:9], v[6:7] op_sel:[1,0,0] op_sel_hi:[0,0,1] neg_lo:[1,0,0] neg_hi:[1,0,0]
	v_pk_fma_f32 v[10:11], v[14:15], s[8:9], v[10:11] op_sel:[1,0,0] op_sel_hi:[0,0,1]
	v_pk_add_f32 v[28:29], v[28:29], v[228:229]
	v_mov_b32_e32 v31, v7
	v_pk_add_f32 v[28:29], v[28:29], v[212:213]
	v_mov_b32_e32 v7, v11
	v_pk_add_f32 v[28:29], v[28:29], v[214:215]
	v_pk_fma_f32 v[6:7], v[0:1], s[6:7], v[6:7] op_sel_hi:[1,0,1]
	ds_write2_b64 v173, v[28:29], v[6:7] offset1:5
	v_pk_add_f32 v[6:7], v[222:223], v[214:215]
	v_pk_add_f32 v[28:29], v[212:213], v[214:215] neg_lo:[0,1] neg_hi:[0,1]
	v_pk_fma_f32 v[2:3], v[6:7], 0.5, v[2:3] op_sel_hi:[1,0,1] neg_lo:[1,0,0] neg_hi:[1,0,0]
	v_pk_add_f32 v[6:7], v[228:229], v[222:223] neg_lo:[0,1] neg_hi:[0,1]
	v_mov_b32_e32 v30, v10
	v_pk_add_f32 v[6:7], v[6:7], v[28:29]
	v_pk_fma_f32 v[28:29], v[14:15], s[2:3], v[2:3] op_sel:[1,0,0] op_sel_hi:[0,0,1] neg_lo:[1,0,0] neg_hi:[1,0,0]
	v_pk_fma_f32 v[2:3], v[14:15], s[2:3], v[2:3] op_sel:[1,0,0] op_sel_hi:[0,0,1]
	v_pk_fma_f32 v[2:3], v[8:9], s[8:9], v[2:3] op_sel:[1,0,0] op_sel_hi:[0,0,1] neg_lo:[1,0,0] neg_hi:[1,0,0]
	v_pk_fma_f32 v[8:9], v[8:9], s[8:9], v[28:29] op_sel:[1,0,0] op_sel_hi:[0,0,1]
	v_mov_b32_e32 v14, v8
	v_mov_b32_e32 v15, v3
	;; [unrolled: 1-line block ×3, first 2 shown]
	v_pk_fma_f32 v[8:9], v[6:7], s[6:7], v[14:15] op_sel_hi:[1,0,1]
	v_pk_fma_f32 v[2:3], v[6:7], s[6:7], v[2:3] op_sel_hi:[1,0,1]
	;; [unrolled: 1-line block ×3, first 2 shown]
	v_mov_b32_e32 v225, v5
	v_mov_b32_e32 v221, v205
	ds_write2_b64 v173, v[2:3], v[8:9] offset0:10 offset1:15
	ds_write_b64 v173, v[0:1] offset:160
	v_pk_add_f32 v[0:1], v[224:225], v[220:221] neg_lo:[0,1] neg_hi:[0,1]
	v_pk_add_f32 v[2:3], v[146:147], v[22:23] neg_lo:[0,1] neg_hi:[0,1]
	;; [unrolled: 1-line block ×3, first 2 shown]
	v_pk_add_f32 v[0:1], v[0:1], v[2:3]
	v_pk_add_f32 v[2:3], v[220:221], v[22:23]
	v_pk_add_f32 v[8:9], v[220:221], v[22:23] neg_lo:[0,1] neg_hi:[0,1]
	v_pk_fma_f32 v[2:3], v[2:3], 0.5, v[12:13] op_sel_hi:[1,0,1] neg_lo:[1,0,0] neg_hi:[1,0,0]
	v_pk_add_f32 v[10:11], v[12:13], v[224:225]
	v_pk_fma_f32 v[6:7], v[4:5], s[2:3], v[2:3] op_sel:[1,0,0] op_sel_hi:[0,0,1]
	v_pk_fma_f32 v[2:3], v[4:5], s[2:3], v[2:3] op_sel:[1,0,0] op_sel_hi:[0,0,1] neg_lo:[1,0,0] neg_hi:[1,0,0]
	v_pk_fma_f32 v[2:3], v[8:9], s[8:9], v[2:3] op_sel:[1,0,0] op_sel_hi:[0,0,1] neg_lo:[1,0,0] neg_hi:[1,0,0]
	v_pk_fma_f32 v[6:7], v[8:9], s[8:9], v[6:7] op_sel:[1,0,0] op_sel_hi:[0,0,1]
	v_pk_add_f32 v[10:11], v[10:11], v[220:221]
	v_mov_b32_e32 v15, v3
	v_pk_add_f32 v[10:11], v[10:11], v[22:23]
	v_mov_b32_e32 v3, v7
	v_pk_add_f32 v[10:11], v[10:11], v[146:147]
	v_pk_fma_f32 v[2:3], v[0:1], s[6:7], v[2:3] op_sel_hi:[1,0,1]
	ds_write2_b64 v175, v[10:11], v[2:3] offset1:5
	v_pk_add_f32 v[2:3], v[224:225], v[146:147]
	v_pk_add_f32 v[10:11], v[220:221], v[224:225] neg_lo:[0,1] neg_hi:[0,1]
	v_pk_fma_f32 v[2:3], v[2:3], 0.5, v[12:13] op_sel_hi:[1,0,1] neg_lo:[1,0,0] neg_hi:[1,0,0]
	v_pk_add_f32 v[12:13], v[22:23], v[146:147] neg_lo:[0,1] neg_hi:[0,1]
	v_mov_b32_e32 v14, v6
	v_pk_add_f32 v[10:11], v[10:11], v[12:13]
	v_pk_fma_f32 v[12:13], v[8:9], s[2:3], v[2:3] op_sel:[1,0,0] op_sel_hi:[0,0,1] neg_lo:[1,0,0] neg_hi:[1,0,0]
	v_pk_fma_f32 v[2:3], v[8:9], s[2:3], v[2:3] op_sel:[1,0,0] op_sel_hi:[0,0,1]
	v_pk_fma_f32 v[2:3], v[4:5], s[8:9], v[2:3] op_sel:[1,0,0] op_sel_hi:[0,0,1] neg_lo:[1,0,0] neg_hi:[1,0,0]
	v_pk_fma_f32 v[4:5], v[4:5], s[8:9], v[12:13] op_sel:[1,0,0] op_sel_hi:[0,0,1]
	v_mov_b32_e32 v8, v4
	v_mov_b32_e32 v9, v3
	;; [unrolled: 1-line block ×3, first 2 shown]
	v_pk_fma_f32 v[4:5], v[10:11], s[6:7], v[8:9] op_sel_hi:[1,0,1]
	v_pk_fma_f32 v[2:3], v[10:11], s[6:7], v[2:3] op_sel_hi:[1,0,1]
	;; [unrolled: 1-line block ×3, first 2 shown]
	ds_write2_b64 v175, v[2:3], v[4:5] offset0:10 offset1:15
	ds_write_b64 v175, v[0:1] offset:160
	s_waitcnt lgkmcnt(0)
	s_barrier
	ds_read_b64 v[2:3], v108 offset:25200
	ds_read2_b64 v[4:7], v151 offset0:10 offset1:235
	s_waitcnt lgkmcnt(1)
	v_pk_mul_f32 v[8:9], v[180:181], v[2:3] op_sel_hi:[0,1]
	v_pk_fma_f32 v[0:1], v[42:43], v[2:3], v[8:9] op_sel:[0,0,1] op_sel_hi:[1,1,0]
	v_pk_fma_f32 v[12:13], v[42:43], v[2:3], v[8:9] op_sel:[0,0,1] op_sel_hi:[0,1,0] neg_lo:[0,0,1] neg_hi:[0,0,1]
	ds_read2_b64 v[8:11], v155 offset0:12 offset1:237
	s_waitcnt lgkmcnt(1)
	v_pk_mul_f32 v[14:15], v[40:41], v[6:7] op_sel:[1,0]
	v_mov_b32_e32 v1, v13
	v_pk_fma_f32 v[2:3], v[40:41], v[6:7], v[14:15] op_sel:[0,0,1] op_sel_hi:[1,1,0]
	v_pk_fma_f32 v[14:15], v[40:41], v[6:7], v[14:15] op_sel:[0,0,1] op_sel_hi:[0,1,0] neg_lo:[0,0,1] neg_hi:[0,0,1]
	v_pk_mul_f32 v[6:7], v[36:37], v[4:5] op_sel:[1,0]
	s_waitcnt lgkmcnt(0)
	v_pk_mul_f32 v[28:29], v[168:169], v[10:11] op_sel_hi:[0,1]
	v_pk_fma_f32 v[20:21], v[36:37], v[4:5], v[6:7] op_sel:[0,0,1] op_sel_hi:[1,1,0]
	v_pk_fma_f32 v[22:23], v[36:37], v[4:5], v[6:7] op_sel:[0,0,1] op_sel_hi:[0,1,0] neg_lo:[0,0,1] neg_hi:[0,0,1]
	ds_read2_b64 v[4:7], v159 offset0:8 offset1:233
	v_pk_fma_f32 v[30:31], v[38:39], v[10:11], v[28:29] op_sel:[0,0,1] op_sel_hi:[1,1,0]
	v_pk_fma_f32 v[28:29], v[38:39], v[10:11], v[28:29] op_sel:[0,0,1] op_sel_hi:[0,1,0] neg_lo:[0,0,1] neg_hi:[0,0,1]
	v_pk_mul_f32 v[10:11], v[166:167], v[8:9] op_sel_hi:[0,1]
	v_pk_fma_f32 v[36:37], v[46:47], v[8:9], v[10:11] op_sel:[0,0,1] op_sel_hi:[1,1,0]
	v_pk_fma_f32 v[38:39], v[46:47], v[8:9], v[10:11] op_sel:[0,0,1] op_sel_hi:[0,1,0] neg_lo:[0,0,1] neg_hi:[0,0,1]
	ds_read2_b64 v[8:11], v153 offset0:4 offset1:229
	s_waitcnt lgkmcnt(1)
	v_pk_mul_f32 v[40:41], v[44:45], v[6:7] op_sel:[1,0]
	v_mov_b32_e32 v37, v39
	v_pk_fma_f32 v[42:43], v[44:45], v[6:7], v[40:41] op_sel:[0,0,1] op_sel_hi:[1,1,0]
	v_pk_fma_f32 v[40:41], v[44:45], v[6:7], v[40:41] op_sel:[0,0,1] op_sel_hi:[0,1,0] neg_lo:[0,0,1] neg_hi:[0,0,1]
	v_pk_mul_f32 v[6:7], v[162:163], v[4:5] op_sel_hi:[0,1]
	v_pk_fma_f32 v[44:45], v[18:19], v[4:5], v[6:7] op_sel:[0,0,1] op_sel_hi:[1,1,0]
	v_pk_fma_f32 v[46:47], v[18:19], v[4:5], v[6:7] op_sel:[0,0,1] op_sel_hi:[0,1,0] neg_lo:[0,0,1] neg_hi:[0,0,1]
	s_waitcnt lgkmcnt(0)
	v_pk_mul_f32 v[146:147], v[16:17], v[10:11] op_sel:[1,0]
	ds_read2_b64 v[4:7], v157 offset0:6 offset1:231
	v_pk_fma_f32 v[162:163], v[16:17], v[10:11], v[146:147] op_sel:[0,0,1] op_sel_hi:[1,1,0]
	v_pk_fma_f32 v[16:17], v[16:17], v[10:11], v[146:147] op_sel:[0,0,1] op_sel_hi:[0,1,0] neg_lo:[0,0,1] neg_hi:[0,0,1]
	v_pk_mul_f32 v[10:11], v[24:25], v[8:9] op_sel:[1,0]
	v_mov_b32_e32 v43, v41
	v_pk_fma_f32 v[146:147], v[24:25], v[8:9], v[10:11] op_sel:[0,0,1] op_sel_hi:[1,1,0]
	v_pk_fma_f32 v[24:25], v[24:25], v[8:9], v[10:11] op_sel:[0,0,1] op_sel_hi:[0,1,0] neg_lo:[0,0,1] neg_hi:[0,0,1]
	ds_read2_b64 v[8:11], v161 offset0:2 offset1:227
	s_waitcnt lgkmcnt(1)
	v_pk_mul_f32 v[164:165], v[160:161], v[6:7] op_sel_hi:[0,1]
	v_pk_fma_f32 v[166:167], v[26:27], v[6:7], v[164:165] op_sel:[0,0,1] op_sel_hi:[1,1,0]
	v_pk_fma_f32 v[26:27], v[26:27], v[6:7], v[164:165] op_sel:[0,0,1] op_sel_hi:[0,1,0] neg_lo:[0,0,1] neg_hi:[0,0,1]
	v_pk_mul_f32 v[6:7], v[158:159], v[4:5] op_sel_hi:[0,1]
	v_pk_fma_f32 v[164:165], v[34:35], v[4:5], v[6:7] op_sel:[0,0,1] op_sel_hi:[1,1,0]
	v_pk_fma_f32 v[4:5], v[34:35], v[4:5], v[6:7] op_sel:[0,0,1] op_sel_hi:[0,1,0] neg_lo:[0,0,1] neg_hi:[0,0,1]
	s_waitcnt lgkmcnt(0)
	v_pk_mul_f32 v[6:7], v[32:33], v[10:11] op_sel:[1,0]
	v_mov_b32_e32 v165, v5
	v_pk_fma_f32 v[34:35], v[32:33], v[10:11], v[6:7] op_sel:[0,0,1] op_sel_hi:[1,1,0]
	v_pk_fma_f32 v[6:7], v[32:33], v[10:11], v[6:7] op_sel:[0,0,1] op_sel_hi:[0,1,0] neg_lo:[0,0,1] neg_hi:[0,0,1]
	v_mov_b32_e32 v35, v7
	ds_read2_b64 v[4:7], v108 offset1:225
	v_pk_add_f32 v[10:11], v[34:35], v[164:165] neg_lo:[0,1] neg_hi:[0,1]
	v_pk_add_f32 v[32:33], v[36:37], v[42:43] neg_lo:[0,1] neg_hi:[0,1]
	;; [unrolled: 1-line block ×3, first 2 shown]
	v_pk_add_f32 v[10:11], v[10:11], v[32:33]
	v_pk_add_f32 v[32:33], v[164:165], v[42:43]
	v_pk_mul_f32 v[40:41], v[38:39], s[2:3] op_sel_hi:[1,0]
	s_waitcnt lgkmcnt(0)
	v_pk_fma_f32 v[32:33], v[32:33], 0.5, v[4:5] op_sel_hi:[1,0,1] neg_lo:[1,0,0] neg_hi:[1,0,0]
	s_nop 0
	v_pk_add_f32 v[168:169], v[32:33], v[40:41] op_sel:[0,1] op_sel_hi:[1,0] neg_lo:[0,1] neg_hi:[0,1]
	v_pk_add_f32 v[32:33], v[32:33], v[40:41] op_sel:[0,1] op_sel_hi:[1,0]
	v_pk_add_f32 v[40:41], v[164:165], v[42:43] neg_lo:[0,1] neg_hi:[0,1]
	s_barrier
	v_pk_mul_f32 v[170:171], v[40:41], s[8:9] op_sel_hi:[1,0]
	s_nop 0
	v_pk_add_f32 v[32:33], v[32:33], v[170:171] op_sel:[0,1] op_sel_hi:[1,0]
	v_pk_add_f32 v[168:169], v[168:169], v[170:171] op_sel:[0,1] op_sel_hi:[1,0] neg_lo:[0,1] neg_hi:[0,1]
	v_pk_add_f32 v[170:171], v[4:5], v[34:35]
	v_mov_b32_e32 v181, v33
	v_pk_add_f32 v[170:171], v[170:171], v[164:165]
	v_pk_add_f32 v[164:165], v[164:165], v[34:35] neg_lo:[0,1] neg_hi:[0,1]
	v_pk_add_f32 v[34:35], v[34:35], v[36:37]
	v_pk_add_f32 v[170:171], v[170:171], v[42:43]
	v_pk_fma_f32 v[4:5], v[34:35], 0.5, v[4:5] op_sel_hi:[1,0,1] neg_lo:[1,0,0] neg_hi:[1,0,0]
	v_pk_mul_f32 v[34:35], v[40:41], s[2:3] op_sel_hi:[1,0]
	v_pk_add_f32 v[170:171], v[170:171], v[36:37]
	v_pk_add_f32 v[40:41], v[4:5], v[34:35] op_sel:[0,1] op_sel_hi:[1,0]
	v_pk_add_f32 v[4:5], v[4:5], v[34:35] op_sel:[0,1] op_sel_hi:[1,0] neg_lo:[0,1] neg_hi:[0,1]
	v_pk_mul_f32 v[34:35], v[38:39], s[8:9] op_sel_hi:[1,0]
	v_pk_add_f32 v[36:37], v[42:43], v[36:37] neg_lo:[0,1] neg_hi:[0,1]
	v_pk_add_f32 v[4:5], v[4:5], v[34:35] op_sel:[0,1] op_sel_hi:[1,0]
	v_pk_add_f32 v[34:35], v[40:41], v[34:35] op_sel:[0,1] op_sel_hi:[1,0] neg_lo:[0,1] neg_hi:[0,1]
	v_pk_add_f32 v[36:37], v[164:165], v[36:37]
	v_mov_b32_e32 v38, v34
	v_mov_b32_e32 v39, v5
	;; [unrolled: 1-line block ×3, first 2 shown]
	v_pk_fma_f32 v[34:35], v[36:37], s[6:7], v[38:39] op_sel_hi:[1,0,1]
	v_pk_fma_f32 v[4:5], v[36:37], s[6:7], v[4:5] op_sel_hi:[1,0,1]
	v_mov_b32_e32 v33, v169
	v_mov_b32_e32 v180, v168
	ds_write2_b64 v19, v[34:35], v[4:5] offset0:50 offset1:75
	v_pk_fma_f32 v[4:5], v[10:11], s[6:7], v[32:33] op_sel_hi:[1,0,1]
	v_mov_b32_e32 v147, v25
	v_mov_b32_e32 v167, v27
	;; [unrolled: 1-line block ×4, first 2 shown]
	v_pk_fma_f32 v[180:181], v[10:11], s[6:7], v[180:181] op_sel_hi:[1,0,1]
	ds_write_b64 v19, v[4:5] offset:800
	v_pk_add_f32 v[4:5], v[146:147], v[166:167] neg_lo:[0,1] neg_hi:[0,1]
	v_pk_add_f32 v[10:11], v[30:31], v[20:21] neg_lo:[0,1] neg_hi:[0,1]
	ds_write2_b64 v19, v[170:171], v[180:181] offset1:25
	v_pk_add_f32 v[4:5], v[4:5], v[10:11]
	v_pk_add_f32 v[10:11], v[166:167], v[20:21]
	v_pk_add_f32 v[18:19], v[146:147], v[30:31] neg_lo:[0,1] neg_hi:[0,1]
	v_pk_fma_f32 v[10:11], v[10:11], 0.5, v[6:7] op_sel_hi:[1,0,1] neg_lo:[1,0,0] neg_hi:[1,0,0]
	v_pk_add_f32 v[24:25], v[166:167], v[20:21] neg_lo:[0,1] neg_hi:[0,1]
	v_pk_fma_f32 v[22:23], v[18:19], s[2:3], v[10:11] op_sel:[1,0,0] op_sel_hi:[0,0,1]
	v_pk_fma_f32 v[10:11], v[18:19], s[2:3], v[10:11] op_sel:[1,0,0] op_sel_hi:[0,0,1] neg_lo:[1,0,0] neg_hi:[1,0,0]
	v_pk_add_f32 v[26:27], v[6:7], v[146:147]
	v_pk_fma_f32 v[10:11], v[24:25], s[8:9], v[10:11] op_sel:[1,0,0] op_sel_hi:[0,0,1] neg_lo:[1,0,0] neg_hi:[1,0,0]
	v_pk_fma_f32 v[22:23], v[24:25], s[8:9], v[22:23] op_sel:[1,0,0] op_sel_hi:[0,0,1]
	v_pk_add_f32 v[26:27], v[26:27], v[166:167]
	v_mov_b32_e32 v29, v11
	v_pk_add_f32 v[26:27], v[26:27], v[20:21]
	v_mov_b32_e32 v11, v23
	v_pk_add_f32 v[26:27], v[26:27], v[30:31]
	v_pk_fma_f32 v[10:11], v[4:5], s[6:7], v[10:11] op_sel_hi:[1,0,1]
	ds_write2_b64 v177, v[26:27], v[10:11] offset1:25
	v_pk_add_f32 v[10:11], v[146:147], v[30:31]
	v_pk_add_f32 v[20:21], v[20:21], v[30:31] neg_lo:[0,1] neg_hi:[0,1]
	v_pk_fma_f32 v[6:7], v[10:11], 0.5, v[6:7] op_sel_hi:[1,0,1] neg_lo:[1,0,0] neg_hi:[1,0,0]
	v_pk_add_f32 v[10:11], v[166:167], v[146:147] neg_lo:[0,1] neg_hi:[0,1]
	v_mov_b32_e32 v28, v22
	v_pk_add_f32 v[10:11], v[10:11], v[20:21]
	v_pk_fma_f32 v[20:21], v[24:25], s[2:3], v[6:7] op_sel:[1,0,0] op_sel_hi:[0,0,1] neg_lo:[1,0,0] neg_hi:[1,0,0]
	v_pk_fma_f32 v[6:7], v[24:25], s[2:3], v[6:7] op_sel:[1,0,0] op_sel_hi:[0,0,1]
	v_pk_fma_f32 v[6:7], v[18:19], s[8:9], v[6:7] op_sel:[1,0,0] op_sel_hi:[0,0,1] neg_lo:[1,0,0] neg_hi:[1,0,0]
	v_pk_fma_f32 v[18:19], v[18:19], s[8:9], v[20:21] op_sel:[1,0,0] op_sel_hi:[0,0,1]
	v_mov_b32_e32 v20, v18
	v_mov_b32_e32 v21, v7
	;; [unrolled: 1-line block ×3, first 2 shown]
	v_pk_fma_f32 v[18:19], v[10:11], s[6:7], v[20:21] op_sel_hi:[1,0,1]
	v_pk_fma_f32 v[6:7], v[10:11], s[6:7], v[6:7] op_sel_hi:[1,0,1]
	;; [unrolled: 1-line block ×3, first 2 shown]
	v_mov_b32_e32 v163, v17
	v_mov_b32_e32 v45, v47
	;; [unrolled: 1-line block ×3, first 2 shown]
	ds_write2_b64 v177, v[6:7], v[18:19] offset0:50 offset1:75
	ds_write_b64 v177, v[4:5] offset:800
	v_pk_add_f32 v[4:5], v[162:163], v[44:45] neg_lo:[0,1] neg_hi:[0,1]
	v_pk_add_f32 v[6:7], v[0:1], v[2:3] neg_lo:[0,1] neg_hi:[0,1]
	;; [unrolled: 1-line block ×3, first 2 shown]
	v_pk_add_f32 v[4:5], v[4:5], v[6:7]
	v_pk_add_f32 v[6:7], v[44:45], v[2:3]
	v_pk_add_f32 v[14:15], v[44:45], v[2:3] neg_lo:[0,1] neg_hi:[0,1]
	v_pk_fma_f32 v[6:7], v[6:7], 0.5, v[8:9] op_sel_hi:[1,0,1] neg_lo:[1,0,0] neg_hi:[1,0,0]
	v_pk_add_f32 v[16:17], v[8:9], v[162:163]
	v_pk_fma_f32 v[12:13], v[10:11], s[2:3], v[6:7] op_sel:[1,0,0] op_sel_hi:[0,0,1]
	v_pk_fma_f32 v[6:7], v[10:11], s[2:3], v[6:7] op_sel:[1,0,0] op_sel_hi:[0,0,1] neg_lo:[1,0,0] neg_hi:[1,0,0]
	v_pk_fma_f32 v[6:7], v[14:15], s[8:9], v[6:7] op_sel:[1,0,0] op_sel_hi:[0,0,1] neg_lo:[1,0,0] neg_hi:[1,0,0]
	v_pk_fma_f32 v[12:13], v[14:15], s[8:9], v[12:13] op_sel:[1,0,0] op_sel_hi:[0,0,1]
	v_pk_add_f32 v[16:17], v[16:17], v[44:45]
	v_mov_b32_e32 v19, v7
	v_pk_add_f32 v[16:17], v[16:17], v[2:3]
	v_mov_b32_e32 v7, v13
	v_pk_add_f32 v[16:17], v[16:17], v[0:1]
	v_pk_fma_f32 v[6:7], v[4:5], s[6:7], v[6:7] op_sel_hi:[1,0,1]
	ds_write2_b64 v179, v[16:17], v[6:7] offset1:25
	v_pk_add_f32 v[6:7], v[162:163], v[0:1]
	v_pk_add_f32 v[0:1], v[2:3], v[0:1] neg_lo:[0,1] neg_hi:[0,1]
	v_pk_fma_f32 v[6:7], v[6:7], 0.5, v[8:9] op_sel_hi:[1,0,1] neg_lo:[1,0,0] neg_hi:[1,0,0]
	v_pk_add_f32 v[8:9], v[44:45], v[162:163] neg_lo:[0,1] neg_hi:[0,1]
	v_pk_fma_f32 v[2:3], v[14:15], s[2:3], v[6:7] op_sel:[1,0,0] op_sel_hi:[0,0,1] neg_lo:[1,0,0] neg_hi:[1,0,0]
	v_pk_fma_f32 v[6:7], v[14:15], s[2:3], v[6:7] op_sel:[1,0,0] op_sel_hi:[0,0,1]
	v_pk_fma_f32 v[6:7], v[10:11], s[8:9], v[6:7] op_sel:[1,0,0] op_sel_hi:[0,0,1] neg_lo:[1,0,0] neg_hi:[1,0,0]
	v_pk_fma_f32 v[2:3], v[10:11], s[8:9], v[2:3] op_sel:[1,0,0] op_sel_hi:[0,0,1]
	v_pk_add_f32 v[0:1], v[8:9], v[0:1]
	v_mov_b32_e32 v8, v2
	v_mov_b32_e32 v9, v7
	;; [unrolled: 1-line block ×3, first 2 shown]
	v_pk_fma_f32 v[2:3], v[0:1], s[6:7], v[8:9] op_sel_hi:[1,0,1]
	v_pk_fma_f32 v[0:1], v[0:1], s[6:7], v[6:7] op_sel_hi:[1,0,1]
	v_mov_b32_e32 v18, v12
	ds_write2_b64 v179, v[0:1], v[2:3] offset0:50 offset1:75
	v_pk_fma_f32 v[0:1], v[4:5], s[6:7], v[18:19] op_sel_hi:[1,0,1]
	ds_write_b64 v179, v[0:1] offset:800
	s_waitcnt lgkmcnt(0)
	s_barrier
	ds_read_b64 v[4:5], v108 offset:25200
	ds_read2_b64 v[0:3], v159 offset0:8 offset1:233
	s_waitcnt lgkmcnt(1)
	v_pk_mul_f32 v[6:7], v[190:191], v[4:5] op_sel_hi:[0,1]
	v_pk_fma_f32 v[8:9], v[50:51], v[4:5], v[6:7] op_sel:[0,0,1] op_sel_hi:[1,1,0]
	v_pk_fma_f32 v[10:11], v[50:51], v[4:5], v[6:7] op_sel:[0,0,1] op_sel_hi:[0,1,0] neg_lo:[0,0,1] neg_hi:[0,0,1]
	ds_read2_b64 v[4:7], v155 offset0:12 offset1:237
	s_waitcnt lgkmcnt(1)
	v_pk_mul_f32 v[12:13], v[48:49], v[2:3] op_sel:[1,0]
	v_mov_b32_e32 v9, v11
	v_pk_fma_f32 v[14:15], v[48:49], v[2:3], v[12:13] op_sel:[0,0,1] op_sel_hi:[1,1,0]
	v_pk_fma_f32 v[12:13], v[48:49], v[2:3], v[12:13] op_sel:[0,0,1] op_sel_hi:[0,1,0] neg_lo:[0,0,1] neg_hi:[0,0,1]
	v_pk_mul_f32 v[2:3], v[56:57], v[0:1] op_sel:[1,0]
	s_waitcnt lgkmcnt(0)
	v_pk_mul_f32 v[20:21], v[178:179], v[6:7] op_sel_hi:[0,1]
	v_pk_fma_f32 v[16:17], v[56:57], v[0:1], v[2:3] op_sel:[0,0,1] op_sel_hi:[1,1,0]
	v_pk_fma_f32 v[18:19], v[56:57], v[0:1], v[2:3] op_sel:[0,0,1] op_sel_hi:[0,1,0] neg_lo:[0,0,1] neg_hi:[0,0,1]
	ds_read2_b64 v[0:3], v157 offset0:6 offset1:231
	v_pk_fma_f32 v[22:23], v[58:59], v[6:7], v[20:21] op_sel:[0,0,1] op_sel_hi:[1,1,0]
	v_pk_fma_f32 v[20:21], v[58:59], v[6:7], v[20:21] op_sel:[0,0,1] op_sel_hi:[0,1,0] neg_lo:[0,0,1] neg_hi:[0,0,1]
	v_pk_mul_f32 v[6:7], v[176:177], v[4:5] op_sel_hi:[0,1]
	v_pk_fma_f32 v[24:25], v[54:55], v[4:5], v[6:7] op_sel:[0,0,1] op_sel_hi:[1,1,0]
	v_pk_fma_f32 v[26:27], v[54:55], v[4:5], v[6:7] op_sel:[0,0,1] op_sel_hi:[0,1,0] neg_lo:[0,0,1] neg_hi:[0,0,1]
	ds_read2_b64 v[4:7], v151 offset0:10 offset1:235
	s_waitcnt lgkmcnt(1)
	v_pk_mul_f32 v[28:29], v[52:53], v[2:3] op_sel:[1,0]
	v_mov_b32_e32 v25, v27
	v_pk_fma_f32 v[30:31], v[52:53], v[2:3], v[28:29] op_sel:[0,0,1] op_sel_hi:[1,1,0]
	v_pk_fma_f32 v[28:29], v[52:53], v[2:3], v[28:29] op_sel:[0,0,1] op_sel_hi:[0,1,0] neg_lo:[0,0,1] neg_hi:[0,0,1]
	v_pk_mul_f32 v[2:3], v[60:61], v[0:1] op_sel:[1,0]
	s_waitcnt lgkmcnt(0)
	v_pk_mul_f32 v[36:37], v[174:175], v[6:7] op_sel_hi:[0,1]
	v_pk_fma_f32 v[32:33], v[60:61], v[0:1], v[2:3] op_sel:[0,0,1] op_sel_hi:[1,1,0]
	v_pk_fma_f32 v[34:35], v[60:61], v[0:1], v[2:3] op_sel:[0,0,1] op_sel_hi:[0,1,0] neg_lo:[0,0,1] neg_hi:[0,0,1]
	ds_read2_b64 v[0:3], v153 offset0:4 offset1:229
	v_pk_fma_f32 v[38:39], v[62:63], v[6:7], v[36:37] op_sel:[0,0,1] op_sel_hi:[1,1,0]
	v_pk_fma_f32 v[36:37], v[62:63], v[6:7], v[36:37] op_sel:[0,0,1] op_sel_hi:[0,1,0] neg_lo:[0,0,1] neg_hi:[0,0,1]
	v_pk_mul_f32 v[6:7], v[172:173], v[4:5] op_sel_hi:[0,1]
	v_pk_fma_f32 v[40:41], v[66:67], v[4:5], v[6:7] op_sel:[0,0,1] op_sel_hi:[1,1,0]
	v_pk_fma_f32 v[42:43], v[66:67], v[4:5], v[6:7] op_sel:[0,0,1] op_sel_hi:[0,1,0] neg_lo:[0,0,1] neg_hi:[0,0,1]
	ds_read2_b64 v[4:7], v108 offset1:225
	s_waitcnt lgkmcnt(1)
	v_pk_mul_f32 v[44:45], v[64:65], v[2:3] op_sel:[1,0]
	v_mov_b32_e32 v41, v43
	v_pk_fma_f32 v[46:47], v[64:65], v[2:3], v[44:45] op_sel:[0,0,1] op_sel_hi:[1,1,0]
	v_pk_fma_f32 v[2:3], v[64:65], v[2:3], v[44:45] op_sel:[0,0,1] op_sel_hi:[0,1,0] neg_lo:[0,0,1] neg_hi:[0,0,1]
	v_mov_b32_e32 v47, v3
	s_waitcnt lgkmcnt(0)
	v_pk_add_f32 v[2:3], v[4:5], v[46:47]
	v_mov_b32_e32 v33, v35
	v_pk_add_f32 v[42:43], v[2:3], v[40:41]
	v_pk_add_f32 v[2:3], v[46:47], v[40:41]
	v_pk_add_f32 v[40:41], v[46:47], v[40:41] neg_lo:[0,1] neg_hi:[0,1]
	v_mov_b32_e32 v39, v37
	v_pk_fma_f32 v[2:3], v[2:3], 0.5, v[4:5] op_sel_hi:[1,0,1] neg_lo:[1,0,0] neg_hi:[1,0,0]
	v_pk_mul_f32 v[4:5], v[40:41], s[12:13] op_sel_hi:[1,0]
	v_pk_add_f32 v[34:35], v[32:33], v[38:39]
	v_pk_add_f32 v[40:41], v[2:3], v[4:5] op_sel:[0,1] op_sel_hi:[1,0] neg_lo:[0,1] neg_hi:[0,1]
	v_pk_add_f32 v[44:45], v[2:3], v[4:5] op_sel:[0,1] op_sel_hi:[1,0]
	ds_read2_b64 v[2:5], v161 offset0:2 offset1:227
	v_pk_fma_f32 v[34:35], v[34:35], 0.5, v[6:7] op_sel_hi:[1,0,1] neg_lo:[1,0,0] neg_hi:[1,0,0]
	v_pk_add_f32 v[6:7], v[6:7], v[32:33]
	v_pk_add_f32 v[32:33], v[32:33], v[38:39] neg_lo:[0,1] neg_hi:[0,1]
	v_mov_b32_e32 v46, v40
	v_pk_mul_f32 v[32:33], v[32:33], s[12:13] op_sel_hi:[1,0]
	v_mov_b32_e32 v47, v45
	v_pk_add_f32 v[36:37], v[34:35], v[32:33] op_sel:[0,1] op_sel_hi:[1,0]
	v_pk_add_f32 v[32:33], v[34:35], v[32:33] op_sel:[0,1] op_sel_hi:[1,0] neg_lo:[0,1] neg_hi:[0,1]
	v_mov_b32_e32 v45, v41
	v_pk_add_f32 v[6:7], v[6:7], v[38:39]
	v_mov_b32_e32 v34, v32
	v_mov_b32_e32 v35, v37
	;; [unrolled: 1-line block ×3, first 2 shown]
	s_waitcnt lgkmcnt(0)
	s_barrier
	ds_write2_b64 v55, v[42:43], v[46:47] offset1:125
	ds_write_b64 v55, v[44:45] offset:2000
	ds_write2_b64 v59, v[6:7], v[34:35] offset1:125
	v_pk_add_f32 v[6:7], v[30:31], v[24:25]
	v_pk_add_f32 v[26:27], v[30:31], v[24:25] neg_lo:[0,1] neg_hi:[0,1]
	v_pk_fma_f32 v[6:7], v[6:7], 0.5, v[2:3] op_sel_hi:[1,0,1] neg_lo:[1,0,0] neg_hi:[1,0,0]
	v_pk_mul_f32 v[26:27], v[26:27], s[12:13] op_sel_hi:[1,0]
	v_pk_add_f32 v[2:3], v[2:3], v[30:31]
	v_pk_add_f32 v[28:29], v[6:7], v[26:27] op_sel:[0,1] op_sel_hi:[1,0]
	v_pk_add_f32 v[6:7], v[6:7], v[26:27] op_sel:[0,1] op_sel_hi:[1,0] neg_lo:[0,1] neg_hi:[0,1]
	v_mov_b32_e32 v37, v33
	v_pk_add_f32 v[2:3], v[2:3], v[24:25]
	v_mov_b32_e32 v24, v6
	v_mov_b32_e32 v25, v29
	;; [unrolled: 1-line block ×4, first 2 shown]
	ds_write_b64 v59, v[36:37] offset:2000
	ds_write2_b64 v63, v[2:3], v[24:25] offset1:125
	v_mov_b32_e32 v29, v7
	v_pk_add_f32 v[2:3], v[16:17], v[22:23]
	v_pk_add_f32 v[6:7], v[16:17], v[22:23] neg_lo:[0,1] neg_hi:[0,1]
	v_pk_fma_f32 v[2:3], v[2:3], 0.5, v[4:5] op_sel_hi:[1,0,1] neg_lo:[1,0,0] neg_hi:[1,0,0]
	v_pk_mul_f32 v[6:7], v[6:7], s[12:13] op_sel_hi:[1,0]
	v_pk_add_f32 v[4:5], v[4:5], v[16:17]
	v_pk_add_f32 v[16:17], v[2:3], v[6:7] op_sel:[0,1] op_sel_hi:[1,0]
	v_pk_add_f32 v[2:3], v[2:3], v[6:7] op_sel:[0,1] op_sel_hi:[1,0] neg_lo:[0,1] neg_hi:[0,1]
	v_pk_add_f32 v[4:5], v[4:5], v[22:23]
	v_mov_b32_e32 v6, v2
	v_mov_b32_e32 v7, v17
	;; [unrolled: 1-line block ×3, first 2 shown]
	ds_write_b64 v63, v[28:29] offset:2000
	ds_write2_b64 v67, v[4:5], v[6:7] offset1:125
	v_mov_b32_e32 v17, v3
	v_pk_add_f32 v[2:3], v[14:15], v[8:9]
	v_pk_add_f32 v[4:5], v[14:15], v[8:9] neg_lo:[0,1] neg_hi:[0,1]
	v_pk_fma_f32 v[2:3], v[2:3], 0.5, v[0:1] op_sel_hi:[1,0,1] neg_lo:[1,0,0] neg_hi:[1,0,0]
	v_pk_mul_f32 v[4:5], v[4:5], s[12:13] op_sel_hi:[1,0]
	v_pk_add_f32 v[0:1], v[0:1], v[14:15]
	v_pk_add_f32 v[6:7], v[2:3], v[4:5] op_sel:[0,1] op_sel_hi:[1,0]
	v_pk_add_f32 v[2:3], v[2:3], v[4:5] op_sel:[0,1] op_sel_hi:[1,0] neg_lo:[0,1] neg_hi:[0,1]
	v_pk_add_f32 v[0:1], v[0:1], v[8:9]
	v_mov_b32_e32 v4, v2
	v_mov_b32_e32 v5, v7
	;; [unrolled: 1-line block ×3, first 2 shown]
	ds_write_b64 v67, v[16:17] offset:2000
	ds_write2_b64 v51, v[0:1], v[4:5] offset1:125
	ds_write_b64 v51, v[6:7] offset:2000
	s_waitcnt lgkmcnt(0)
	s_barrier
	ds_read_b64 v[4:5], v108 offset:25200
	ds_read2_b64 v[0:3], v159 offset0:8 offset1:233
	s_waitcnt lgkmcnt(1)
	v_pk_mul_f32 v[6:7], v[196:197], v[4:5] op_sel_hi:[0,1]
	v_pk_fma_f32 v[8:9], v[70:71], v[4:5], v[6:7] op_sel:[0,0,1] op_sel_hi:[1,1,0]
	v_pk_fma_f32 v[10:11], v[70:71], v[4:5], v[6:7] op_sel:[0,0,1] op_sel_hi:[0,1,0] neg_lo:[0,0,1] neg_hi:[0,0,1]
	s_waitcnt lgkmcnt(0)
	v_pk_mul_f32 v[12:13], v[68:69], v[2:3] op_sel:[1,0]
	ds_read2_b64 v[4:7], v155 offset0:12 offset1:237
	v_pk_fma_f32 v[14:15], v[68:69], v[2:3], v[12:13] op_sel:[0,0,1] op_sel_hi:[1,1,0]
	v_pk_fma_f32 v[12:13], v[68:69], v[2:3], v[12:13] op_sel:[0,0,1] op_sel_hi:[0,1,0] neg_lo:[0,0,1] neg_hi:[0,0,1]
	v_pk_mul_f32 v[2:3], v[72:73], v[0:1] op_sel:[1,0]
	v_mov_b32_e32 v15, v13
	v_pk_fma_f32 v[16:17], v[72:73], v[0:1], v[2:3] op_sel:[0,0,1] op_sel_hi:[1,1,0]
	v_pk_fma_f32 v[18:19], v[72:73], v[0:1], v[2:3] op_sel:[0,0,1] op_sel_hi:[0,1,0] neg_lo:[0,0,1] neg_hi:[0,0,1]
	ds_read2_b64 v[0:3], v157 offset0:6 offset1:231
	s_waitcnt lgkmcnt(1)
	v_pk_mul_f32 v[20:21], v[188:189], v[6:7] op_sel_hi:[0,1]
	v_pk_fma_f32 v[22:23], v[74:75], v[6:7], v[20:21] op_sel:[0,0,1] op_sel_hi:[1,1,0]
	v_pk_fma_f32 v[20:21], v[74:75], v[6:7], v[20:21] op_sel:[0,0,1] op_sel_hi:[0,1,0] neg_lo:[0,0,1] neg_hi:[0,0,1]
	v_pk_mul_f32 v[6:7], v[184:185], v[4:5] op_sel_hi:[0,1]
	v_pk_fma_f32 v[24:25], v[78:79], v[4:5], v[6:7] op_sel:[0,0,1] op_sel_hi:[1,1,0]
	v_pk_fma_f32 v[26:27], v[78:79], v[4:5], v[6:7] op_sel:[0,0,1] op_sel_hi:[0,1,0] neg_lo:[0,0,1] neg_hi:[0,0,1]
	s_waitcnt lgkmcnt(0)
	v_pk_mul_f32 v[28:29], v[76:77], v[2:3] op_sel:[1,0]
	ds_read2_b64 v[4:7], v151 offset0:10 offset1:235
	v_pk_fma_f32 v[30:31], v[76:77], v[2:3], v[28:29] op_sel:[0,0,1] op_sel_hi:[1,1,0]
	v_pk_fma_f32 v[28:29], v[76:77], v[2:3], v[28:29] op_sel:[0,0,1] op_sel_hi:[0,1,0] neg_lo:[0,0,1] neg_hi:[0,0,1]
	v_pk_mul_f32 v[2:3], v[84:85], v[0:1] op_sel:[1,0]
	v_mov_b32_e32 v17, v19
	v_pk_fma_f32 v[32:33], v[84:85], v[0:1], v[2:3] op_sel:[0,0,1] op_sel_hi:[1,1,0]
	v_pk_fma_f32 v[34:35], v[84:85], v[0:1], v[2:3] op_sel:[0,0,1] op_sel_hi:[0,1,0] neg_lo:[0,0,1] neg_hi:[0,0,1]
	ds_read2_b64 v[0:3], v153 offset0:4 offset1:229
	s_waitcnt lgkmcnt(1)
	v_pk_mul_f32 v[36:37], v[186:187], v[6:7] op_sel_hi:[0,1]
	v_pk_fma_f32 v[38:39], v[86:87], v[6:7], v[36:37] op_sel:[0,0,1] op_sel_hi:[1,1,0]
	v_pk_fma_f32 v[6:7], v[86:87], v[6:7], v[36:37] op_sel:[0,0,1] op_sel_hi:[0,1,0] neg_lo:[0,0,1] neg_hi:[0,0,1]
	v_pk_mul_f32 v[36:37], v[182:183], v[4:5] op_sel_hi:[0,1]
	v_pk_fma_f32 v[40:41], v[90:91], v[4:5], v[36:37] op_sel:[0,0,1] op_sel_hi:[1,1,0]
	v_pk_fma_f32 v[36:37], v[90:91], v[4:5], v[36:37] op_sel:[0,0,1] op_sel_hi:[0,1,0] neg_lo:[0,0,1] neg_hi:[0,0,1]
	s_waitcnt lgkmcnt(0)
	v_pk_mul_f32 v[4:5], v[88:89], v[2:3] op_sel:[1,0]
	v_mov_b32_e32 v41, v37
	v_pk_fma_f32 v[42:43], v[88:89], v[2:3], v[4:5] op_sel:[0,0,1] op_sel_hi:[1,1,0]
	v_pk_fma_f32 v[2:3], v[88:89], v[2:3], v[4:5] op_sel:[0,0,1] op_sel_hi:[0,1,0] neg_lo:[0,0,1] neg_hi:[0,0,1]
	v_mov_b32_e32 v43, v3
	ds_read2_b64 v[2:5], v108 offset1:225
	v_mov_b32_e32 v39, v7
	v_pk_add_f32 v[6:7], v[42:43], v[40:41]
	v_mov_b32_e32 v33, v35
	v_pk_add_f32 v[34:35], v[32:33], v[38:39]
	s_waitcnt lgkmcnt(0)
	v_pk_fma_f32 v[6:7], v[6:7], 0.5, v[2:3] op_sel_hi:[1,0,1] neg_lo:[1,0,0] neg_hi:[1,0,0]
	v_pk_add_f32 v[2:3], v[2:3], v[42:43]
	v_pk_add_f32 v[36:37], v[4:5], v[32:33]
	;; [unrolled: 1-line block ×3, first 2 shown]
	v_pk_add_f32 v[40:41], v[42:43], v[40:41] neg_lo:[0,1] neg_hi:[0,1]
	v_pk_fma_f32 v[34:35], v[34:35], 0.5, v[4:5] op_sel_hi:[1,0,1] neg_lo:[1,0,0] neg_hi:[1,0,0]
	v_pk_mul_f32 v[40:41], v[40:41], s[12:13] op_sel_hi:[1,0]
	ds_read2_b64 v[2:5], v161 offset0:2 offset1:227
	v_pk_add_f32 v[42:43], v[6:7], v[40:41] op_sel:[0,1] op_sel_hi:[1,0]
	v_pk_add_f32 v[6:7], v[6:7], v[40:41] op_sel:[0,1] op_sel_hi:[1,0] neg_lo:[0,1] neg_hi:[0,1]
	v_mov_b32_e32 v41, v43
	v_mov_b32_e32 v40, v6
	;; [unrolled: 1-line block ×3, first 2 shown]
	v_pk_add_f32 v[6:7], v[36:37], v[38:39]
	s_waitcnt lgkmcnt(0)
	s_barrier
	ds_write_b64 v108, v[44:45]
	ds_write_b64 v108, v[40:41] offset:3000
	ds_write_b64 v108, v[42:43] offset:6000
	ds_write_b64 v75, v[6:7]
	v_pk_add_f32 v[6:7], v[32:33], v[38:39] neg_lo:[0,1] neg_hi:[0,1]
	v_mov_b32_e32 v23, v21
	v_pk_mul_f32 v[6:7], v[6:7], s[12:13] op_sel_hi:[1,0]
	v_pk_add_f32 v[18:19], v[16:17], v[22:23] neg_lo:[0,1] neg_hi:[0,1]
	v_pk_add_f32 v[32:33], v[34:35], v[6:7] op_sel:[0,1] op_sel_hi:[1,0] neg_lo:[0,1] neg_hi:[0,1]
	v_pk_add_f32 v[6:7], v[34:35], v[6:7] op_sel:[0,1] op_sel_hi:[1,0]
	v_pk_mul_f32 v[18:19], v[18:19], s[12:13] op_sel_hi:[1,0]
	v_mov_b32_e32 v35, v7
	v_mov_b32_e32 v7, v33
	ds_write_b64 v75, v[6:7] offset:6000
	v_pk_add_f32 v[6:7], v[16:17], v[22:23]
	v_mov_b32_e32 v31, v29
	v_pk_fma_f32 v[6:7], v[6:7], 0.5, v[4:5] op_sel_hi:[1,0,1] neg_lo:[1,0,0] neg_hi:[1,0,0]
	v_mov_b32_e32 v25, v27
	v_pk_add_f32 v[20:21], v[6:7], v[18:19] op_sel:[0,1] op_sel_hi:[1,0]
	v_pk_add_f32 v[6:7], v[6:7], v[18:19] op_sel:[0,1] op_sel_hi:[1,0] neg_lo:[0,1] neg_hi:[0,1]
	v_pk_add_f32 v[18:19], v[30:31], v[24:25]
	v_pk_add_f32 v[4:5], v[4:5], v[16:17]
	v_pk_add_f32 v[16:17], v[30:31], v[24:25] neg_lo:[0,1] neg_hi:[0,1]
	v_pk_fma_f32 v[18:19], v[18:19], 0.5, v[2:3] op_sel_hi:[1,0,1] neg_lo:[1,0,0] neg_hi:[1,0,0]
	v_pk_add_f32 v[2:3], v[2:3], v[30:31]
	v_pk_mul_f32 v[16:17], v[16:17], s[12:13] op_sel_hi:[1,0]
	v_mov_b32_e32 v34, v32
	v_pk_add_f32 v[26:27], v[18:19], v[16:17] op_sel:[0,1] op_sel_hi:[1,0]
	v_pk_add_f32 v[16:17], v[18:19], v[16:17] op_sel:[0,1] op_sel_hi:[1,0] neg_lo:[0,1] neg_hi:[0,1]
	v_pk_add_f32 v[2:3], v[2:3], v[24:25]
	ds_write_b64 v75, v[34:35] offset:3000
	ds_write_b64 v108, v[2:3] offset:9600
	v_mov_b32_e32 v2, v16
	v_mov_b32_e32 v3, v27
	ds_write_b64 v108, v[2:3] offset:12600
	v_mov_b32_e32 v27, v17
	v_pk_add_f32 v[2:3], v[4:5], v[22:23]
	ds_write_b64 v108, v[26:27] offset:15600
	ds_write_b64 v79, v[2:3]
	v_mov_b32_e32 v2, v6
	v_mov_b32_e32 v3, v21
	;; [unrolled: 1-line block ×3, first 2 shown]
	ds_write_b64 v79, v[2:3] offset:3000
	v_pk_add_f32 v[2:3], v[14:15], v[8:9]
	v_pk_add_f32 v[4:5], v[14:15], v[8:9] neg_lo:[0,1] neg_hi:[0,1]
	v_pk_fma_f32 v[2:3], v[2:3], 0.5, v[0:1] op_sel_hi:[1,0,1] neg_lo:[1,0,0] neg_hi:[1,0,0]
	v_pk_add_f32 v[0:1], v[0:1], v[14:15]
	v_pk_mul_f32 v[4:5], v[4:5], s[12:13] op_sel_hi:[1,0]
	v_mov_b32_e32 v21, v7
	v_pk_add_f32 v[6:7], v[2:3], v[4:5] op_sel:[0,1] op_sel_hi:[1,0]
	v_pk_add_f32 v[2:3], v[2:3], v[4:5] op_sel:[0,1] op_sel_hi:[1,0] neg_lo:[0,1] neg_hi:[0,1]
	v_pk_add_f32 v[0:1], v[0:1], v[8:9]
	ds_write_b64 v79, v[20:21] offset:6000
	ds_write_b64 v71, v[0:1] offset:18000
	v_mov_b32_e32 v0, v2
	v_mov_b32_e32 v1, v7
	;; [unrolled: 1-line block ×3, first 2 shown]
	ds_write_b64 v71, v[0:1] offset:21000
	ds_write_b64 v71, v[6:7] offset:24000
	s_waitcnt lgkmcnt(0)
	s_barrier
	ds_read_b64 v[4:5], v108 offset:25200
	ds_read2_b64 v[0:3], v159 offset0:8 offset1:233
	s_waitcnt lgkmcnt(1)
	v_pk_mul_f32 v[6:7], v[202:203], v[4:5] op_sel_hi:[0,1]
	v_pk_fma_f32 v[10:11], v[106:107], v[4:5], v[6:7] op_sel:[0,0,1] op_sel_hi:[1,1,0]
	v_pk_fma_f32 v[12:13], v[106:107], v[4:5], v[6:7] op_sel:[0,0,1] op_sel_hi:[0,1,0] neg_lo:[0,0,1] neg_hi:[0,0,1]
	s_waitcnt lgkmcnt(0)
	v_pk_mul_f32 v[8:9], v[104:105], v[2:3] op_sel:[1,0]
	ds_read2_b64 v[4:7], v155 offset0:12 offset1:237
	v_pk_fma_f32 v[14:15], v[104:105], v[2:3], v[8:9] op_sel:[0,0,1] op_sel_hi:[1,1,0]
	v_pk_fma_f32 v[16:17], v[104:105], v[2:3], v[8:9] op_sel:[0,0,1] op_sel_hi:[0,1,0] neg_lo:[0,0,1] neg_hi:[0,0,1]
	v_pk_mul_f32 v[2:3], v[100:101], v[0:1] op_sel:[1,0]
	v_mov_b32_e32 v11, v13
	v_pk_fma_f32 v[18:19], v[100:101], v[0:1], v[2:3] op_sel:[0,0,1] op_sel_hi:[1,1,0]
	v_pk_fma_f32 v[20:21], v[100:101], v[0:1], v[2:3] op_sel:[0,0,1] op_sel_hi:[0,1,0] neg_lo:[0,0,1] neg_hi:[0,0,1]
	ds_read2_b64 v[0:3], v157 offset0:6 offset1:231
	s_waitcnt lgkmcnt(1)
	v_pk_mul_f32 v[8:9], v[200:201], v[6:7] op_sel_hi:[0,1]
	v_pk_fma_f32 v[22:23], v[102:103], v[6:7], v[8:9] op_sel:[0,0,1] op_sel_hi:[1,1,0]
	v_pk_fma_f32 v[24:25], v[102:103], v[6:7], v[8:9] op_sel:[0,0,1] op_sel_hi:[0,1,0] neg_lo:[0,0,1] neg_hi:[0,0,1]
	v_pk_mul_f32 v[6:7], v[198:199], v[4:5] op_sel_hi:[0,1]
	v_pk_fma_f32 v[26:27], v[98:99], v[4:5], v[6:7] op_sel:[0,0,1] op_sel_hi:[1,1,0]
	v_pk_fma_f32 v[28:29], v[98:99], v[4:5], v[6:7] op_sel:[0,0,1] op_sel_hi:[0,1,0] neg_lo:[0,0,1] neg_hi:[0,0,1]
	s_waitcnt lgkmcnt(0)
	v_pk_mul_f32 v[8:9], v[96:97], v[2:3] op_sel:[1,0]
	ds_read2_b64 v[4:7], v151 offset0:10 offset1:235
	v_pk_fma_f32 v[30:31], v[96:97], v[2:3], v[8:9] op_sel:[0,0,1] op_sel_hi:[1,1,0]
	v_pk_fma_f32 v[32:33], v[96:97], v[2:3], v[8:9] op_sel:[0,0,1] op_sel_hi:[0,1,0] neg_lo:[0,0,1] neg_hi:[0,0,1]
	v_pk_mul_f32 v[2:3], v[92:93], v[0:1] op_sel:[1,0]
	v_mov_b32_e32 v31, v33
	v_pk_fma_f32 v[34:35], v[92:93], v[0:1], v[2:3] op_sel:[0,0,1] op_sel_hi:[1,1,0]
	v_pk_fma_f32 v[8:9], v[92:93], v[0:1], v[2:3] op_sel:[0,0,1] op_sel_hi:[0,1,0] neg_lo:[0,0,1] neg_hi:[0,0,1]
	ds_read2_b64 v[0:3], v153 offset0:4 offset1:229
	s_waitcnt lgkmcnt(1)
	v_pk_mul_f32 v[36:37], v[194:195], v[6:7] op_sel_hi:[0,1]
	v_pk_fma_f32 v[38:39], v[94:95], v[6:7], v[36:37] op_sel:[0,0,1] op_sel_hi:[1,1,0]
	v_pk_fma_f32 v[6:7], v[94:95], v[6:7], v[36:37] op_sel:[0,0,1] op_sel_hi:[0,1,0] neg_lo:[0,0,1] neg_hi:[0,0,1]
	v_pk_mul_f32 v[36:37], v[192:193], v[4:5] op_sel_hi:[0,1]
	v_pk_fma_f32 v[40:41], v[82:83], v[4:5], v[36:37] op_sel:[0,0,1] op_sel_hi:[1,1,0]
	v_pk_fma_f32 v[36:37], v[82:83], v[4:5], v[36:37] op_sel:[0,0,1] op_sel_hi:[0,1,0] neg_lo:[0,0,1] neg_hi:[0,0,1]
	s_waitcnt lgkmcnt(0)
	v_pk_mul_f32 v[4:5], v[80:81], v[2:3] op_sel:[1,0]
	v_mov_b32_e32 v41, v37
	v_pk_fma_f32 v[42:43], v[80:81], v[2:3], v[4:5] op_sel:[0,0,1] op_sel_hi:[1,1,0]
	v_pk_fma_f32 v[44:45], v[80:81], v[2:3], v[4:5] op_sel:[0,0,1] op_sel_hi:[0,1,0] neg_lo:[0,0,1] neg_hi:[0,0,1]
	ds_read2_b64 v[2:5], v108 offset1:225
	v_mov_b32_e32 v43, v45
	v_mov_b32_e32 v39, v7
	;; [unrolled: 1-line block ×3, first 2 shown]
	v_pk_add_f32 v[8:9], v[42:43], v[40:41] neg_lo:[0,1] neg_hi:[0,1]
	s_waitcnt lgkmcnt(0)
	v_pk_add_f32 v[6:7], v[2:3], v[42:43]
	v_mov_b32_e32 v27, v29
	v_pk_add_f32 v[36:37], v[6:7], v[40:41]
	v_pk_add_f32 v[6:7], v[42:43], v[40:41]
	v_pk_add_f32 v[32:33], v[30:31], v[26:27] neg_lo:[0,1] neg_hi:[0,1]
	v_pk_fma_f32 v[2:3], v[6:7], 0.5, v[2:3] op_sel_hi:[1,0,1] neg_lo:[1,0,0] neg_hi:[1,0,0]
	v_pk_mul_f32 v[6:7], v[8:9], s[12:13] op_sel_hi:[1,0]
	v_pk_mul_f32 v[32:33], v[32:33], s[12:13] op_sel_hi:[1,0]
	v_pk_add_f32 v[40:41], v[2:3], v[6:7] op_sel:[0,1] op_sel_hi:[1,0] neg_lo:[0,1] neg_hi:[0,1]
	v_pk_add_f32 v[2:3], v[2:3], v[6:7] op_sel:[0,1] op_sel_hi:[1,0]
	ds_read2_b64 v[6:9], v161 offset0:2 offset1:227
	v_mov_b32_e32 v43, v3
	v_mov_b32_e32 v3, v41
	ds_write_b64 v108, v[2:3] offset:18000
	v_pk_add_f32 v[2:3], v[4:5], v[34:35]
	v_mov_b32_e32 v42, v40
	v_pk_add_f32 v[2:3], v[2:3], v[38:39]
	ds_write_b64 v108, v[42:43] offset:9000
	ds_write2_b64 v108, v[36:37], v[2:3] offset1:225
	v_pk_add_f32 v[2:3], v[34:35], v[38:39]
	v_mov_b32_e32 v19, v21
	v_pk_fma_f32 v[2:3], v[2:3], 0.5, v[4:5] op_sel_hi:[1,0,1] neg_lo:[1,0,0] neg_hi:[1,0,0]
	v_pk_add_f32 v[4:5], v[34:35], v[38:39] neg_lo:[0,1] neg_hi:[0,1]
	v_mov_b32_e32 v23, v25
	v_pk_mul_f32 v[4:5], v[4:5], s[12:13] op_sel_hi:[1,0]
	s_waitcnt lgkmcnt(3)
	v_pk_add_f32 v[12:13], v[8:9], v[18:19]
	v_pk_add_f32 v[28:29], v[2:3], v[4:5] op_sel:[0,1] op_sel_hi:[1,0] neg_lo:[0,1] neg_hi:[0,1]
	v_pk_add_f32 v[2:3], v[2:3], v[4:5] op_sel:[0,1] op_sel_hi:[1,0]
	v_pk_add_f32 v[4:5], v[30:31], v[26:27]
	v_pk_add_f32 v[12:13], v[12:13], v[22:23]
	v_pk_fma_f32 v[4:5], v[4:5], 0.5, v[6:7] op_sel_hi:[1,0,1] neg_lo:[1,0,0] neg_hi:[1,0,0]
	v_pk_add_f32 v[6:7], v[6:7], v[30:31]
	v_pk_add_f32 v[34:35], v[4:5], v[32:33] op_sel:[0,1] op_sel_hi:[1,0] neg_lo:[0,1] neg_hi:[0,1]
	v_pk_add_f32 v[4:5], v[4:5], v[32:33] op_sel:[0,1] op_sel_hi:[1,0]
	v_mov_b32_e32 v32, v28
	v_mov_b32_e32 v33, v3
	;; [unrolled: 1-line block ×6, first 2 shown]
	ds_write2_b64 v157, v[32:33], v[36:37] offset0:6 offset1:231
	v_pk_add_f32 v[6:7], v[6:7], v[26:27]
	ds_write2_b64 v83, v[2:3], v[4:5] offset0:11 offset1:236
	ds_write2_b64 v161, v[6:7], v[12:13] offset0:2 offset1:227
	v_pk_add_f32 v[2:3], v[18:19], v[22:23]
	v_pk_add_f32 v[4:5], v[18:19], v[22:23] neg_lo:[0,1] neg_hi:[0,1]
	v_pk_fma_f32 v[2:3], v[2:3], 0.5, v[8:9] op_sel_hi:[1,0,1] neg_lo:[1,0,0] neg_hi:[1,0,0]
	v_pk_mul_f32 v[4:5], v[4:5], s[12:13] op_sel_hi:[1,0]
	v_mov_b32_e32 v15, v17
	v_pk_add_f32 v[6:7], v[2:3], v[4:5] op_sel:[0,1] op_sel_hi:[1,0] neg_lo:[0,1] neg_hi:[0,1]
	v_pk_add_f32 v[2:3], v[2:3], v[4:5] op_sel:[0,1] op_sel_hi:[1,0]
	v_pk_add_f32 v[16:17], v[0:1], v[14:15]
	v_mov_b32_e32 v5, v3
	v_mov_b32_e32 v3, v7
	v_pk_add_f32 v[16:17], v[16:17], v[10:11]
	ds_write_b64 v108, v[2:3] offset:23400
	ds_write_b64 v108, v[16:17] offset:7200
	v_pk_add_f32 v[2:3], v[14:15], v[10:11]
	v_mov_b32_e32 v4, v6
	v_pk_fma_f32 v[0:1], v[2:3], 0.5, v[0:1] op_sel_hi:[1,0,1] neg_lo:[1,0,0] neg_hi:[1,0,0]
	v_pk_add_f32 v[2:3], v[14:15], v[10:11] neg_lo:[0,1] neg_hi:[0,1]
	v_mov_b32_e32 v8, s0
	v_pk_mul_f32 v[2:3], v[2:3], s[12:13] op_sel_hi:[1,0]
	v_mov_b32_e32 v9, s1
	v_pk_add_f32 v[6:7], v[0:1], v[2:3] op_sel:[0,1] op_sel_hi:[1,0] neg_lo:[0,1] neg_hi:[0,1]
	v_pk_add_f32 v[0:1], v[0:1], v[2:3] op_sel:[0,1] op_sel_hi:[1,0]
	v_mov_b32_e32 v2, v6
	v_mov_b32_e32 v3, v1
	;; [unrolled: 1-line block ×3, first 2 shown]
	ds_write2_b64 v159, v[4:5], v[2:3] offset0:8 offset1:233
	ds_write_b64 v108, v[0:1] offset:25200
	s_waitcnt lgkmcnt(0)
	s_barrier
	ds_read2_b64 v[0:3], v108 offset1:225
	s_mov_b32 s0, 0xe70b7421
	s_mov_b32 s1, 0x3f336b06
	v_lshl_add_u64 v[8:9], v[110:111], 3, v[8:9]
	s_waitcnt lgkmcnt(0)
	v_mul_f32_e32 v4, v145, v1
	v_fmac_f32_e32 v4, v144, v0
	v_mul_f32_e32 v0, v145, v0
	v_fma_f32 v0, v144, v1, -v0
	v_cvt_f64_f32_e32 v[0:1], v0
	v_cvt_f64_f32_e32 v[4:5], v4
	v_mul_f64 v[0:1], v[0:1], s[0:1]
	v_mul_f64 v[4:5], v[4:5], s[0:1]
	v_cvt_f32_f64_e32 v11, v[0:1]
	v_mad_u64_u32 v[0:1], s[2:3], s4, v116, 0
	v_cvt_f32_f64_e32 v10, v[4:5]
	v_mov_b32_e32 v4, v1
	v_mad_u64_u32 v[12:13], s[2:3], s5, v116, v[4:5]
	ds_read2_b64 v[4:7], v161 offset0:2 offset1:227
	v_mov_b32_e32 v1, v12
	v_lshl_add_u64 v[0:1], v[0:1], 3, v[8:9]
	global_store_dwordx2 v[0:1], v[10:11], off
	v_mad_u64_u32 v[0:1], s[2:3], s4, v127, v[0:1]
	s_waitcnt lgkmcnt(0)
	v_mul_f32_e32 v8, v129, v7
	v_fmac_f32_e32 v8, v128, v6
	v_mul_f32_e32 v6, v129, v6
	v_fma_f32 v6, v128, v7, -v6
	v_cvt_f64_f32_e32 v[8:9], v8
	v_cvt_f64_f32_e32 v[6:7], v6
	v_mul_f64 v[8:9], v[8:9], s[0:1]
	v_mul_f64 v[6:7], v[6:7], s[0:1]
	v_cvt_f32_f64_e32 v10, v[8:9]
	v_cvt_f32_f64_e32 v11, v[6:7]
	ds_read2_b64 v[6:9], v157 offset0:6 offset1:231
	s_mul_i32 s2, s5, 0x1518
	v_add_u32_e32 v1, s2, v1
	global_store_dwordx2 v[0:1], v[10:11], off
	v_mad_u64_u32 v[0:1], s[6:7], s4, v127, v[0:1]
	s_waitcnt lgkmcnt(0)
	v_mul_f32_e32 v10, v121, v7
	v_fmac_f32_e32 v10, v120, v6
	v_cvt_f64_f32_e32 v[10:11], v10
	v_mul_f64 v[10:11], v[10:11], s[0:1]
	v_cvt_f32_f64_e32 v14, v[10:11]
	ds_read2_b64 v[10:13], v159 offset0:8 offset1:233
	v_mul_f32_e32 v6, v121, v6
	v_fma_f32 v6, v120, v7, -v6
	v_cvt_f64_f32_e32 v[6:7], v6
	v_mul_f64 v[6:7], v[6:7], s[0:1]
	v_cvt_f32_f64_e32 v15, v[6:7]
	s_waitcnt lgkmcnt(0)
	v_mul_f32_e32 v6, v133, v13
	v_fmac_f32_e32 v6, v132, v12
	v_cvt_f64_f32_e32 v[6:7], v6
	v_mul_f64 v[6:7], v[6:7], s[0:1]
	v_cvt_f32_f64_e32 v6, v[6:7]
	v_mul_f32_e32 v7, v133, v12
	v_fma_f32 v7, v132, v13, -v7
	v_cvt_f64_f32_e32 v[12:13], v7
	v_add_u32_e32 v1, s2, v1
	v_mul_f64 v[12:13], v[12:13], s[0:1]
	global_store_dwordx2 v[0:1], v[14:15], off
	v_cvt_f32_f64_e32 v7, v[12:13]
	ds_read2_b64 v[12:15], v155 offset0:12 offset1:237
	v_mad_u64_u32 v[0:1], s[6:7], s4, v127, v[0:1]
	v_add_u32_e32 v1, s2, v1
	global_store_dwordx2 v[0:1], v[6:7], off
	s_waitcnt lgkmcnt(0)
	v_mul_f32_e32 v6, v123, v13
	v_fmac_f32_e32 v6, v122, v12
	v_cvt_f64_f32_e32 v[6:7], v6
	v_mul_f64 v[6:7], v[6:7], s[0:1]
	v_cvt_f32_f64_e32 v6, v[6:7]
	v_mul_f32_e32 v7, v123, v12
	v_fma_f32 v7, v122, v13, -v7
	v_cvt_f64_f32_e32 v[12:13], v7
	v_mul_f64 v[12:13], v[12:13], s[0:1]
	v_mad_u64_u32 v[0:1], s[6:7], s4, v127, v[0:1]
	v_cvt_f32_f64_e32 v7, v[12:13]
	v_add_u32_e32 v1, s2, v1
	global_store_dwordx2 v[0:1], v[6:7], off
	v_mul_f32_e32 v6, v125, v3
	v_fmac_f32_e32 v6, v124, v2
	v_mul_f32_e32 v2, v125, v2
	v_fma_f32 v2, v124, v3, -v2
	v_cvt_f64_f32_e32 v[6:7], v6
	v_cvt_f64_f32_e32 v[2:3], v2
	v_mul_f64 v[6:7], v[6:7], s[0:1]
	v_mul_f64 v[2:3], v[2:3], s[0:1]
	v_cvt_f32_f64_e32 v6, v[6:7]
	v_cvt_f32_f64_e32 v7, v[2:3]
	v_mad_u64_u32 v[12:13], s[6:7], s4, v149, v[0:1]
	ds_read2_b64 v[0:3], v153 offset0:4 offset1:229
	s_mul_i32 s3, s5, 0xffffb2a8
	s_sub_i32 s3, s3, s4
	v_add_u32_e32 v13, s3, v13
	global_store_dwordx2 v[12:13], v[6:7], off
	s_waitcnt lgkmcnt(0)
	v_mul_f32_e32 v6, v119, v1
	v_fmac_f32_e32 v6, v118, v0
	v_mul_f32_e32 v0, v119, v0
	v_fma_f32 v0, v118, v1, -v0
	v_cvt_f64_f32_e32 v[6:7], v6
	v_cvt_f64_f32_e32 v[0:1], v0
	v_mul_f64 v[6:7], v[6:7], s[0:1]
	v_mul_f64 v[0:1], v[0:1], s[0:1]
	v_cvt_f32_f64_e32 v6, v[6:7]
	v_cvt_f32_f64_e32 v7, v[0:1]
	v_mad_u64_u32 v[0:1], s[6:7], s4, v127, v[12:13]
	v_add_u32_e32 v1, s2, v1
	global_store_dwordx2 v[0:1], v[6:7], off
	v_mul_f32_e32 v6, v115, v9
	v_fmac_f32_e32 v6, v114, v8
	v_cvt_f64_f32_e32 v[6:7], v6
	v_mul_f64 v[6:7], v[6:7], s[0:1]
	v_cvt_f32_f64_e32 v12, v[6:7]
	v_mul_f32_e32 v6, v115, v8
	v_fma_f32 v6, v114, v9, -v6
	v_cvt_f64_f32_e32 v[6:7], v6
	v_mul_f64 v[6:7], v[6:7], s[0:1]
	v_cvt_f32_f64_e32 v13, v[6:7]
	ds_read2_b64 v[6:9], v151 offset0:10 offset1:235
	v_mad_u64_u32 v[0:1], s[6:7], s4, v127, v[0:1]
	v_add_u32_e32 v1, s2, v1
	global_store_dwordx2 v[0:1], v[12:13], off
	s_waitcnt lgkmcnt(0)
	v_mul_f32_e32 v12, v143, v7
	v_fmac_f32_e32 v12, v142, v6
	v_mul_f32_e32 v6, v143, v6
	v_fma_f32 v6, v142, v7, -v6
	v_cvt_f64_f32_e32 v[12:13], v12
	v_cvt_f64_f32_e32 v[6:7], v6
	v_mul_f64 v[12:13], v[12:13], s[0:1]
	v_mul_f64 v[6:7], v[6:7], s[0:1]
	v_cvt_f32_f64_e32 v12, v[12:13]
	v_cvt_f32_f64_e32 v13, v[6:7]
	v_mul_f32_e32 v6, v141, v15
	v_fmac_f32_e32 v6, v140, v14
	v_cvt_f64_f32_e32 v[6:7], v6
	v_mul_f64 v[6:7], v[6:7], s[0:1]
	v_mad_u64_u32 v[0:1], s[6:7], s4, v127, v[0:1]
	v_cvt_f32_f64_e32 v6, v[6:7]
	v_mul_f32_e32 v7, v141, v14
	v_add_u32_e32 v1, s2, v1
	v_fma_f32 v7, v140, v15, -v7
	global_store_dwordx2 v[0:1], v[12:13], off
	v_cvt_f64_f32_e32 v[12:13], v7
	v_mul_f64 v[12:13], v[12:13], s[0:1]
	v_mad_u64_u32 v[0:1], s[6:7], s4, v127, v[0:1]
	v_cvt_f32_f64_e32 v7, v[12:13]
	v_add_u32_e32 v1, s2, v1
	global_store_dwordx2 v[0:1], v[6:7], off
	v_mul_f32_e32 v6, v139, v5
	v_fmac_f32_e32 v6, v138, v4
	v_mul_f32_e32 v4, v139, v4
	v_fma_f32 v4, v138, v5, -v4
	v_cvt_f64_f32_e32 v[6:7], v6
	v_cvt_f64_f32_e32 v[4:5], v4
	v_mul_f64 v[6:7], v[6:7], s[0:1]
	v_mul_f64 v[4:5], v[4:5], s[0:1]
	v_cvt_f32_f64_e32 v6, v[6:7]
	v_cvt_f32_f64_e32 v7, v[4:5]
	v_mul_f32_e32 v4, v137, v3
	v_fmac_f32_e32 v4, v136, v2
	v_mul_f32_e32 v2, v137, v2
	v_fma_f32 v2, v136, v3, -v2
	v_cvt_f64_f32_e32 v[4:5], v4
	v_cvt_f64_f32_e32 v[2:3], v2
	v_mul_f64 v[4:5], v[4:5], s[0:1]
	v_mul_f64 v[2:3], v[2:3], s[0:1]
	v_cvt_f32_f64_e32 v4, v[4:5]
	v_cvt_f32_f64_e32 v5, v[2:3]
	v_mul_f32_e32 v2, v135, v11
	v_fmac_f32_e32 v2, v134, v10
	v_mad_u64_u32 v[0:1], s[6:7], s4, v149, v[0:1]
	v_cvt_f64_f32_e32 v[2:3], v2
	v_add_u32_e32 v1, s3, v1
	v_mul_f64 v[2:3], v[2:3], s[0:1]
	global_store_dwordx2 v[0:1], v[6:7], off
	v_mad_u64_u32 v[0:1], s[6:7], s4, v127, v[0:1]
	v_cvt_f32_f64_e32 v2, v[2:3]
	v_mul_f32_e32 v3, v135, v10
	v_add_u32_e32 v1, s2, v1
	v_fma_f32 v3, v134, v11, -v3
	global_store_dwordx2 v[0:1], v[4:5], off
	v_cvt_f64_f32_e32 v[4:5], v3
	v_mul_f64 v[4:5], v[4:5], s[0:1]
	v_mad_u64_u32 v[0:1], s[6:7], s4, v127, v[0:1]
	v_cvt_f32_f64_e32 v3, v[4:5]
	v_add_u32_e32 v1, s2, v1
	global_store_dwordx2 v[0:1], v[2:3], off
	v_mul_f32_e32 v2, v131, v9
	v_fmac_f32_e32 v2, v130, v8
	v_cvt_f64_f32_e32 v[2:3], v2
	v_mul_f64 v[2:3], v[2:3], s[0:1]
	v_cvt_f32_f64_e32 v2, v[2:3]
	v_mul_f32_e32 v3, v131, v8
	v_fma_f32 v3, v130, v9, -v3
	v_cvt_f64_f32_e32 v[4:5], v3
	v_mul_f64 v[4:5], v[4:5], s[0:1]
	v_cvt_f32_f64_e32 v3, v[4:5]
	ds_read_b64 v[4:5], v108 offset:25200
	v_mad_u64_u32 v[0:1], s[6:7], s4, v127, v[0:1]
	v_add_u32_e32 v1, s2, v1
	global_store_dwordx2 v[0:1], v[2:3], off
	s_waitcnt lgkmcnt(0)
	v_mul_f32_e32 v2, v113, v5
	v_fmac_f32_e32 v2, v112, v4
	v_cvt_f64_f32_e32 v[2:3], v2
	v_mul_f64 v[2:3], v[2:3], s[0:1]
	v_cvt_f32_f64_e32 v2, v[2:3]
	v_mul_f32_e32 v3, v113, v4
	v_fma_f32 v3, v112, v5, -v3
	v_cvt_f64_f32_e32 v[4:5], v3
	v_mul_f64 v[4:5], v[4:5], s[0:1]
	v_mad_u64_u32 v[0:1], s[0:1], s4, v127, v[0:1]
	v_cvt_f32_f64_e32 v3, v[4:5]
	v_add_u32_e32 v1, s2, v1
	global_store_dwordx2 v[0:1], v[2:3], off
.LBB0_2:
	s_endpgm
	.section	.rodata,"a",@progbits
	.p2align	6, 0x0
	.amdhsa_kernel bluestein_single_back_len3375_dim1_sp_op_CI_CI
		.amdhsa_group_segment_fixed_size 27000
		.amdhsa_private_segment_fixed_size 0
		.amdhsa_kernarg_size 104
		.amdhsa_user_sgpr_count 2
		.amdhsa_user_sgpr_dispatch_ptr 0
		.amdhsa_user_sgpr_queue_ptr 0
		.amdhsa_user_sgpr_kernarg_segment_ptr 1
		.amdhsa_user_sgpr_dispatch_id 0
		.amdhsa_user_sgpr_kernarg_preload_length 0
		.amdhsa_user_sgpr_kernarg_preload_offset 0
		.amdhsa_user_sgpr_private_segment_size 0
		.amdhsa_uses_dynamic_stack 0
		.amdhsa_enable_private_segment 0
		.amdhsa_system_sgpr_workgroup_id_x 1
		.amdhsa_system_sgpr_workgroup_id_y 0
		.amdhsa_system_sgpr_workgroup_id_z 0
		.amdhsa_system_sgpr_workgroup_info 0
		.amdhsa_system_vgpr_workitem_id 0
		.amdhsa_next_free_vgpr 244
		.amdhsa_next_free_sgpr 20
		.amdhsa_accum_offset 244
		.amdhsa_reserve_vcc 1
		.amdhsa_float_round_mode_32 0
		.amdhsa_float_round_mode_16_64 0
		.amdhsa_float_denorm_mode_32 3
		.amdhsa_float_denorm_mode_16_64 3
		.amdhsa_dx10_clamp 1
		.amdhsa_ieee_mode 1
		.amdhsa_fp16_overflow 0
		.amdhsa_tg_split 0
		.amdhsa_exception_fp_ieee_invalid_op 0
		.amdhsa_exception_fp_denorm_src 0
		.amdhsa_exception_fp_ieee_div_zero 0
		.amdhsa_exception_fp_ieee_overflow 0
		.amdhsa_exception_fp_ieee_underflow 0
		.amdhsa_exception_fp_ieee_inexact 0
		.amdhsa_exception_int_div_zero 0
	.end_amdhsa_kernel
	.text
.Lfunc_end0:
	.size	bluestein_single_back_len3375_dim1_sp_op_CI_CI, .Lfunc_end0-bluestein_single_back_len3375_dim1_sp_op_CI_CI
                                        ; -- End function
	.section	.AMDGPU.csdata,"",@progbits
; Kernel info:
; codeLenInByte = 17276
; NumSgprs: 26
; NumVgprs: 244
; NumAgprs: 0
; TotalNumVgprs: 244
; ScratchSize: 0
; MemoryBound: 0
; FloatMode: 240
; IeeeMode: 1
; LDSByteSize: 27000 bytes/workgroup (compile time only)
; SGPRBlocks: 3
; VGPRBlocks: 30
; NumSGPRsForWavesPerEU: 26
; NumVGPRsForWavesPerEU: 244
; AccumOffset: 244
; Occupancy: 2
; WaveLimiterHint : 1
; COMPUTE_PGM_RSRC2:SCRATCH_EN: 0
; COMPUTE_PGM_RSRC2:USER_SGPR: 2
; COMPUTE_PGM_RSRC2:TRAP_HANDLER: 0
; COMPUTE_PGM_RSRC2:TGID_X_EN: 1
; COMPUTE_PGM_RSRC2:TGID_Y_EN: 0
; COMPUTE_PGM_RSRC2:TGID_Z_EN: 0
; COMPUTE_PGM_RSRC2:TIDIG_COMP_CNT: 0
; COMPUTE_PGM_RSRC3_GFX90A:ACCUM_OFFSET: 60
; COMPUTE_PGM_RSRC3_GFX90A:TG_SPLIT: 0
	.text
	.p2alignl 6, 3212836864
	.fill 256, 4, 3212836864
	.type	__hip_cuid_44a0686537fbf32,@object ; @__hip_cuid_44a0686537fbf32
	.section	.bss,"aw",@nobits
	.globl	__hip_cuid_44a0686537fbf32
__hip_cuid_44a0686537fbf32:
	.byte	0                               ; 0x0
	.size	__hip_cuid_44a0686537fbf32, 1

	.ident	"AMD clang version 19.0.0git (https://github.com/RadeonOpenCompute/llvm-project roc-6.4.0 25133 c7fe45cf4b819c5991fe208aaa96edf142730f1d)"
	.section	".note.GNU-stack","",@progbits
	.addrsig
	.addrsig_sym __hip_cuid_44a0686537fbf32
	.amdgpu_metadata
---
amdhsa.kernels:
  - .agpr_count:     0
    .args:
      - .actual_access:  read_only
        .address_space:  global
        .offset:         0
        .size:           8
        .value_kind:     global_buffer
      - .actual_access:  read_only
        .address_space:  global
        .offset:         8
        .size:           8
        .value_kind:     global_buffer
      - .actual_access:  read_only
        .address_space:  global
        .offset:         16
        .size:           8
        .value_kind:     global_buffer
      - .actual_access:  read_only
        .address_space:  global
        .offset:         24
        .size:           8
        .value_kind:     global_buffer
      - .actual_access:  read_only
        .address_space:  global
        .offset:         32
        .size:           8
        .value_kind:     global_buffer
      - .offset:         40
        .size:           8
        .value_kind:     by_value
      - .address_space:  global
        .offset:         48
        .size:           8
        .value_kind:     global_buffer
      - .address_space:  global
        .offset:         56
        .size:           8
        .value_kind:     global_buffer
      - .address_space:  global
        .offset:         64
        .size:           8
        .value_kind:     global_buffer
      - .address_space:  global
        .offset:         72
        .size:           8
        .value_kind:     global_buffer
      - .offset:         80
        .size:           4
        .value_kind:     by_value
      - .address_space:  global
        .offset:         88
        .size:           8
        .value_kind:     global_buffer
      - .address_space:  global
        .offset:         96
        .size:           8
        .value_kind:     global_buffer
    .group_segment_fixed_size: 27000
    .kernarg_segment_align: 8
    .kernarg_segment_size: 104
    .language:       OpenCL C
    .language_version:
      - 2
      - 0
    .max_flat_workgroup_size: 225
    .name:           bluestein_single_back_len3375_dim1_sp_op_CI_CI
    .private_segment_fixed_size: 0
    .sgpr_count:     26
    .sgpr_spill_count: 0
    .symbol:         bluestein_single_back_len3375_dim1_sp_op_CI_CI.kd
    .uniform_work_group_size: 1
    .uses_dynamic_stack: false
    .vgpr_count:     244
    .vgpr_spill_count: 0
    .wavefront_size: 64
amdhsa.target:   amdgcn-amd-amdhsa--gfx950
amdhsa.version:
  - 1
  - 2
...

	.end_amdgpu_metadata
